;; amdgpu-corpus repo=ROCm/rocFFT kind=compiled arch=gfx1030 opt=O3
	.text
	.amdgcn_target "amdgcn-amd-amdhsa--gfx1030"
	.amdhsa_code_object_version 6
	.protected	bluestein_single_back_len3125_dim1_sp_op_CI_CI ; -- Begin function bluestein_single_back_len3125_dim1_sp_op_CI_CI
	.globl	bluestein_single_back_len3125_dim1_sp_op_CI_CI
	.p2align	8
	.type	bluestein_single_back_len3125_dim1_sp_op_CI_CI,@function
bluestein_single_back_len3125_dim1_sp_op_CI_CI: ; @bluestein_single_back_len3125_dim1_sp_op_CI_CI
; %bb.0:
	s_load_dwordx4 s[12:15], s[4:5], 0x28
	v_mul_u32_u24_e32 v1, 0x20d, v0
	s_mov_b64 s[22:23], s[2:3]
	s_mov_b64 s[20:21], s[0:1]
	v_mov_b32_e32 v3, 0
	s_add_u32 s20, s20, s7
	v_lshrrev_b32_e32 v1, 16, v1
	s_addc_u32 s21, s21, 0
	s_mov_b32 s0, exec_lo
	v_add_nc_u32_e32 v2, s6, v1
	s_waitcnt lgkmcnt(0)
	v_cmpx_gt_u64_e64 s[12:13], v[2:3]
	s_cbranch_execz .LBB0_2
; %bb.1:
	s_clause 0x1
	s_load_dwordx4 s[0:3], s[4:5], 0x18
	s_load_dwordx4 s[8:11], s[4:5], 0x0
	v_mov_b32_e32 v4, v2
	v_mul_lo_u16 v1, 0x7d, v1
	s_load_dwordx2 s[4:5], s[4:5], 0x38
	v_sub_nc_u16 v20, v0, v1
	v_and_b32_e32 v7, 0xffff, v20
	v_lshlrev_b32_e32 v237, 3, v7
	v_mov_b32_e32 v64, v7
	s_waitcnt lgkmcnt(0)
	s_load_dwordx4 s[16:19], s[0:1], 0x0
	buffer_store_dword v4, off, s[20:23], 0 ; 4-byte Folded Spill
	buffer_store_dword v5, off, s[20:23], 0 offset:4 ; 4-byte Folded Spill
	v_add_co_u32 v160, s0, s8, v237
	v_add_co_ci_u32_e64 v161, null, s9, 0, s0
	global_load_dwordx2 v[48:49], v237, s[8:9]
	v_add_co_u32 v16, vcc_lo, 0x1000, v160
	v_add_co_ci_u32_e32 v17, vcc_lo, 0, v161, vcc_lo
	v_add_co_u32 v8, vcc_lo, 0x2000, v160
	v_add_co_ci_u32_e32 v9, vcc_lo, 0, v161, vcc_lo
	v_add_nc_u32_e32 v254, 0x1400, v237
	v_add_nc_u32_e32 v233, 0x3c00, v237
	;; [unrolled: 1-line block ×4, first 2 shown]
	s_waitcnt lgkmcnt(0)
	v_mad_u64_u32 v[0:1], null, s18, v2, 0
	v_mad_u64_u32 v[2:3], null, s16, v7, 0
	s_mul_i32 s1, s17, 0x1388
	s_mul_hi_u32 s6, s16, 0x1388
	s_mul_i32 s0, s16, 0x1388
	s_add_i32 s1, s6, s1
	s_mul_hi_u32 s6, s16, 0xffffb5c8
	s_mul_i32 s12, s17, 0xffffb5c8
	s_sub_i32 s6, s6, s16
	s_mul_i32 s7, s16, 0xffffb5c8
	s_add_i32 s6, s6, s12
	v_add_nc_u32_e32 v255, 0xc00, v237
	v_add_nc_u32_e32 v239, 0x2400, v237
	v_add_nc_u32_e32 v238, 0x2c00, v237
	v_add_nc_u32_e32 v234, 0x5400, v237
	v_add_co_u32 v162, null, 0x177, v64
	v_add_co_u32 v163, null, 0x1f4, v64
	v_mov_b32_e32 v126, v64
	v_mad_u64_u32 v[4:5], null, s19, v4, v[1:2]
	v_mad_u64_u32 v[5:6], null, s17, v7, v[3:4]
	v_mov_b32_e32 v1, v4
	v_lshlrev_b64 v[0:1], 3, v[0:1]
	v_mov_b32_e32 v3, v5
	v_add_co_u32 v0, vcc_lo, s14, v0
	v_lshlrev_b64 v[2:3], 3, v[2:3]
	v_add_co_ci_u32_e32 v1, vcc_lo, s15, v1, vcc_lo
	v_add_co_u32 v0, vcc_lo, v0, v2
	v_add_co_ci_u32_e32 v1, vcc_lo, v1, v3, vcc_lo
	v_add_co_u32 v2, vcc_lo, v0, s0
	v_add_co_ci_u32_e32 v3, vcc_lo, s1, v1, vcc_lo
	global_load_dwordx2 v[10:11], v[0:1], off
	v_add_co_u32 v4, vcc_lo, v2, s0
	v_add_co_ci_u32_e32 v5, vcc_lo, s1, v3, vcc_lo
	global_load_dwordx2 v[42:43], v[16:17], off offset:904
	global_load_dwordx2 v[12:13], v[2:3], off
	global_load_dwordx2 v[58:59], v[8:9], off offset:1808
	global_load_dwordx2 v[14:15], v[4:5], off
	v_add_co_u32 v18, vcc_lo, 0x3800, v160
	v_add_co_ci_u32_e32 v19, vcc_lo, 0, v161, vcc_lo
	v_add_co_u32 v0, vcc_lo, 0x4800, v160
	v_add_co_ci_u32_e32 v1, vcc_lo, 0, v161, vcc_lo
	v_add_co_u32 v4, vcc_lo, v4, s0
	v_add_co_ci_u32_e32 v5, vcc_lo, s1, v5, vcc_lo
	s_clause 0x1
	global_load_dwordx2 v[40:41], v[18:19], off offset:664
	global_load_dwordx2 v[46:47], v[0:1], off offset:1568
	v_add_co_u32 v6, vcc_lo, v4, s0
	v_add_co_ci_u32_e32 v7, vcc_lo, s1, v5, vcc_lo
	global_load_dwordx2 v[2:3], v[4:5], off
	v_add_co_u32 v21, vcc_lo, v6, s7
	v_add_co_ci_u32_e32 v22, vcc_lo, s6, v7, vcc_lo
	v_add_co_u32 v23, vcc_lo, 0x1800, v160
	v_add_co_ci_u32_e32 v24, vcc_lo, 0, v161, vcc_lo
	;; [unrolled: 2-line block ×4, first 2 shown]
	global_load_dwordx2 v[4:5], v[6:7], off
	global_load_dwordx2 v[6:7], v[21:22], off
	s_clause 0x1
	global_load_dwordx2 v[50:51], v237, s[8:9] offset:1000
	global_load_dwordx2 v[60:61], v237, s[8:9] offset:2000
	v_add_co_u32 v21, vcc_lo, v21, s0
	v_add_co_ci_u32_e32 v22, vcc_lo, s1, v22, vcc_lo
	v_add_co_u32 v29, vcc_lo, 0x5000, v160
	v_add_co_ci_u32_e32 v30, vcc_lo, 0, v161, vcc_lo
	;; [unrolled: 2-line block ×3, first 2 shown]
	global_load_dwordx2 v[250:251], v[16:17], off offset:1904
	v_add_co_u32 v16, vcc_lo, v31, s0
	v_add_co_ci_u32_e32 v17, vcc_lo, s1, v32, vcc_lo
	global_load_dwordx2 v[54:55], v[23:24], off offset:856
	v_add_co_u32 v33, vcc_lo, v16, s0
	v_add_co_ci_u32_e32 v34, vcc_lo, s1, v17, vcc_lo
	global_load_dwordx2 v[21:22], v[21:22], off
	v_add_co_u32 v35, vcc_lo, v33, s7
	v_add_co_ci_u32_e32 v36, vcc_lo, s6, v34, vcc_lo
	global_load_dwordx2 v[31:32], v[31:32], off
	v_add_co_u32 v37, vcc_lo, v35, s0
	v_add_co_ci_u32_e32 v38, vcc_lo, s1, v36, vcc_lo
	s_clause 0x3
	global_load_dwordx2 v[56:57], v[25:26], off offset:760
	global_load_dwordx2 v[62:63], v[25:26], off offset:1760
	;; [unrolled: 1-line block ×4, first 2 shown]
	global_load_dwordx2 v[18:19], v[37:38], off
	s_clause 0x1
	global_load_dwordx2 v[246:247], v[29:30], off offset:520
	global_load_dwordx2 v[44:45], v[8:9], off offset:808
	global_load_dwordx2 v[8:9], v[16:17], off
	global_load_dwordx2 v[16:17], v[33:34], off
	s_waitcnt vmcnt(25)
	buffer_store_dword v48, off, s[20:23], 0 offset:128 ; 4-byte Folded Spill
	buffer_store_dword v49, off, s[20:23], 0 offset:132 ; 4-byte Folded Spill
	v_add_co_u32 v25, vcc_lo, v37, s0
	v_add_co_ci_u32_e32 v26, vcc_lo, s1, v38, vcc_lo
	s_waitcnt vmcnt(23)
	buffer_store_dword v42, off, s[20:23], 0 offset:80 ; 4-byte Folded Spill
	buffer_store_dword v43, off, s[20:23], 0 offset:84 ; 4-byte Folded Spill
	global_load_dwordx2 v[35:36], v[35:36], off
	s_waitcnt vmcnt(22)
	buffer_store_dword v58, off, s[20:23], 0 offset:156 ; 4-byte Folded Spill
	buffer_store_dword v59, off, s[20:23], 0 offset:160 ; 4-byte Folded Spill
	v_mul_f32_e32 v34, v10, v49
	v_mul_f32_e32 v33, v11, v49
	v_fma_f32 v34, v11, v48, -v34
	v_fmac_f32_e32 v33, v10, v48
	v_mul_f32_e32 v37, v13, v43
	v_mul_f32_e32 v11, v12, v43
	s_waitcnt vmcnt(21)
	v_mul_f32_e32 v10, v15, v59
	v_mul_f32_e32 v39, v14, v59
	v_fmac_f32_e32 v37, v12, v42
	v_add_co_u32 v12, vcc_lo, v25, s0
	v_fma_f32 v38, v13, v42, -v11
	s_waitcnt vmcnt(20)
	v_mov_b32_e32 v43, v41
	v_add_co_ci_u32_e32 v13, vcc_lo, s1, v26, vcc_lo
	v_mov_b32_e32 v42, v40
	v_fmac_f32_e32 v10, v14, v58
	v_add_co_u32 v14, vcc_lo, v12, s0
	ds_write_b64 v237, v[37:38] offset:5000
	global_load_dwordx2 v[25:26], v[25:26], off
	v_fma_f32 v11, v15, v58, -v39
	v_add_co_ci_u32_e32 v15, vcc_lo, s1, v13, vcc_lo
	s_waitcnt vmcnt(19)
	v_mul_f32_e32 v39, v2, v41
	v_mul_f32_e32 v37, v3, v41
	global_load_dwordx2 v[12:13], v[12:13], off
	s_clause 0x1
	global_load_dwordx2 v[40:41], v[29:30], off offset:1520
	global_load_dwordx2 v[29:30], v[0:1], off offset:568
	buffer_store_dword v42, off, s[20:23], 0 offset:88 ; 4-byte Folded Spill
	buffer_store_dword v43, off, s[20:23], 0 offset:92 ; 4-byte Folded Spill
	ds_write_b64 v237, v[10:11] offset:10000
	buffer_store_dword v46, off, s[20:23], 0 offset:120 ; 4-byte Folded Spill
	buffer_store_dword v47, off, s[20:23], 0 offset:124 ; 4-byte Folded Spill
	global_load_dwordx2 v[10:11], v[14:15], off
	v_fma_f32 v38, v3, v42, -v39
	v_fmac_f32_e32 v37, v2, v42
	s_waitcnt vmcnt(22)
	v_mul_f32_e32 v1, v4, v47
	v_mul_f32_e32 v0, v5, v47
	v_add_co_u32 v2, vcc_lo, v14, s7
	ds_write_b64 v237, v[37:38] offset:15000
	s_waitcnt vmcnt(20)
	buffer_store_dword v50, off, s[20:23], 0 offset:144 ; 4-byte Folded Spill
	buffer_store_dword v51, off, s[20:23], 0 offset:148 ; 4-byte Folded Spill
	v_fma_f32 v1, v5, v46, -v1
	v_fmac_f32_e32 v0, v4, v46
	v_add_co_ci_u32_e32 v3, vcc_lo, s6, v15, vcc_lo
	v_add_co_u32 v14, vcc_lo, 0x800, v160
	v_add_co_ci_u32_e32 v15, vcc_lo, 0, v161, vcc_lo
	ds_write_b64 v237, v[0:1] offset:20000
	global_load_dwordx2 v[42:43], v[14:15], off offset:952
	global_load_dwordx2 v[0:1], v[2:3], off
	global_load_dwordx2 v[37:38], v[23:24], off offset:1856
	s_waitcnt vmcnt(10)
	v_mul_f32_e32 v23, v9, v253
	v_add_co_u32 v2, vcc_lo, v2, s0
	v_mul_f32_e32 v24, v8, v253
	v_add_co_ci_u32_e32 v3, vcc_lo, s1, v3, vcc_lo
	v_fmac_f32_e32 v23, v8, v252
	s_waitcnt vmcnt(9)
	v_mul_f32_e32 v8, v17, v247
	v_fma_f32 v24, v9, v252, -v24
	v_mul_f32_e32 v9, v16, v247
	v_fmac_f32_e32 v8, v16, v246
	v_fma_f32 v9, v17, v246, -v9
	v_mul_f32_e32 v5, v6, v51
	v_mul_f32_e32 v4, v7, v51
	v_fma_f32 v5, v7, v50, -v5
	v_fmac_f32_e32 v4, v6, v50
	v_mul_f32_e32 v6, v21, v251
	ds_write2_b64 v237, v[33:34], v[4:5] offset1:125
	buffer_store_dword v56, off, s[20:23], 0 offset:136 ; 4-byte Folded Spill
	buffer_store_dword v57, off, s[20:23], 0 offset:140 ; 4-byte Folded Spill
	;; [unrolled: 1-line block ×4, first 2 shown]
	v_mul_f32_e32 v4, v22, v251
	v_fma_f32 v5, v22, v250, -v6
	v_fmac_f32_e32 v4, v21, v250
	v_mul_f32_e32 v7, v31, v57
	v_mul_f32_e32 v22, v18, v55
	;; [unrolled: 1-line block ×4, first 2 shown]
	v_fma_f32 v7, v32, v56, -v7
	v_fma_f32 v22, v19, v54, -v22
	v_fmac_f32_e32 v21, v18, v54
	v_fmac_f32_e32 v6, v31, v56
	v_add_nc_u32_e32 v32, 0x2800, v237
	v_add_nc_u32_e32 v31, 0x5000, v237
	ds_write2_b64 v254, v[4:5], v[21:22] offset0:110 offset1:235
	buffer_store_dword v60, off, s[20:23], 0 offset:164 ; 4-byte Folded Spill
	buffer_store_dword v61, off, s[20:23], 0 offset:168 ; 4-byte Folded Spill
	;; [unrolled: 1-line block ×4, first 2 shown]
	v_add_co_u32 v4, vcc_lo, 0x3000, v160
	v_add_co_ci_u32_e32 v5, vcc_lo, 0, v161, vcc_lo
	s_waitcnt vmcnt(8)
	v_mul_f32_e32 v18, v35, v61
	s_waitcnt vmcnt(7)
	v_mul_f32_e32 v16, v25, v63
	v_mul_f32_e32 v21, v26, v63
	;; [unrolled: 1-line block ×3, first 2 shown]
	v_fma_f32 v18, v36, v60, -v18
	v_fma_f32 v22, v26, v62, -v16
	v_fmac_f32_e32 v21, v25, v62
	s_clause 0x2
	global_load_dwordx2 v[248:249], v[4:5], off offset:712
	global_load_dwordx2 v[27:28], v[27:28], off offset:1616
	;; [unrolled: 1-line block ×3, first 2 shown]
	buffer_store_dword v52, off, s[20:23], 0 offset:104 ; 4-byte Folded Spill
	buffer_store_dword v53, off, s[20:23], 0 offset:108 ; 4-byte Folded Spill
	v_add_co_u32 v14, vcc_lo, v2, s0
	ds_write2_b64 v32, v[6:7], v[21:22] offset0:95 offset1:220
	v_add_co_ci_u32_e32 v15, vcc_lo, s1, v3, vcc_lo
	global_load_dwordx2 v[2:3], v[2:3], off
	v_fmac_f32_e32 v17, v35, v60
	s_waitcnt vmcnt(10)
	v_mul_f32_e32 v6, v13, v53
	v_mul_f32_e32 v16, v12, v53
	v_fmac_f32_e32 v6, v12, v52
	v_add_co_u32 v12, vcc_lo, v14, s0
	v_fma_f32 v7, v13, v52, -v16
	v_add_co_ci_u32_e32 v13, vcc_lo, s1, v15, vcc_lo
	global_load_dwordx2 v[14:15], v[14:15], off
	s_waitcnt vmcnt(10)
	buffer_store_dword v40, off, s[20:23], 0 offset:72 ; 4-byte Folded Spill
	buffer_store_dword v41, off, s[20:23], 0 offset:76 ; 4-byte Folded Spill
	ds_write2_b64 v233, v[23:24], v[6:7] offset0:80 offset1:205
	s_waitcnt vmcnt(7)
	buffer_store_dword v42, off, s[20:23], 0 offset:96 ; 4-byte Folded Spill
	buffer_store_dword v43, off, s[20:23], 0 offset:100 ; 4-byte Folded Spill
	v_add_co_u32 v21, vcc_lo, v12, s0
	v_add_co_ci_u32_e32 v22, vcc_lo, s1, v13, vcc_lo
	global_load_dwordx2 v[23:24], v[4:5], off offset:1712
	v_mul_f32_e32 v16, v10, v41
	v_mul_f32_e32 v6, v11, v41
	v_fma_f32 v7, v11, v40, -v16
	v_fmac_f32_e32 v6, v10, v40
	v_add_co_u32 v10, vcc_lo, v21, s7
	v_add_co_ci_u32_e32 v11, vcc_lo, s6, v22, vcc_lo
	ds_write2_b64 v31, v[8:9], v[6:7] offset0:65 offset1:190
	s_waitcnt vmcnt(7)
	v_mul_f32_e32 v6, v1, v43
	v_add_co_u32 v8, vcc_lo, v10, s0
	v_mul_f32_e32 v16, v0, v43
	v_add_co_ci_u32_e32 v9, vcc_lo, s1, v11, vcc_lo
	v_fmac_f32_e32 v6, v0, v42
	v_add_co_u32 v0, vcc_lo, v8, s0
	v_fma_f32 v7, v1, v42, -v16
	v_add_co_ci_u32_e32 v1, vcc_lo, s1, v9, vcc_lo
	global_load_dwordx2 v[8:9], v[8:9], off
	ds_write2_b64 v241, v[17:18], v[6:7] offset0:122 offset1:247
	global_load_dwordx2 v[4:5], v[0:1], off
	s_waitcnt vmcnt(8)
	buffer_store_dword v37, off, s[20:23], 0 offset:64 ; 4-byte Folded Spill
	buffer_store_dword v38, off, s[20:23], 0 offset:68 ; 4-byte Folded Spill
	;; [unrolled: 1-line block ×4, first 2 shown]
	v_add_co_u32 v0, vcc_lo, v0, s0
	v_add_co_ci_u32_e32 v1, vcc_lo, s1, v1, vcc_lo
	v_add_nc_u32_e32 v17, 0x4c00, v237
	v_mov_b32_e32 v141, v17
	s_waitcnt vmcnt(4)
	v_mul_f32_e32 v6, v2, v38
	v_fma_f32 v7, v3, v37, -v6
	v_mul_f32_e32 v6, v3, v38
	v_fmac_f32_e32 v6, v2, v37
	s_waitcnt vmcnt(3)
	v_mul_f32_e32 v2, v14, v249
	v_fma_f32 v3, v15, v248, -v2
	v_mul_f32_e32 v2, v15, v249
	v_fmac_f32_e32 v2, v14, v248
	s_waitcnt vmcnt(1)
	v_mul_f32_e32 v14, v8, v45
	v_fma_f32 v15, v9, v44, -v14
	v_mul_f32_e32 v14, v9, v45
	v_fmac_f32_e32 v14, v8, v44
	global_load_dwordx2 v[8:9], v[12:13], off
	buffer_store_dword v23, off, s[20:23], 0 offset:16 ; 4-byte Folded Spill
	buffer_store_dword v24, off, s[20:23], 0 offset:20 ; 4-byte Folded Spill
	v_add_co_u32 v12, vcc_lo, 0x5800, v160
	ds_write2_b64 v240, v[6:7], v[14:15] offset0:104 offset1:229
	v_add_co_ci_u32_e32 v13, vcc_lo, 0, v161, vcc_lo
	s_waitcnt vmcnt(1)
	v_mul_f32_e32 v16, v4, v24
	v_mul_f32_e32 v6, v5, v24
	v_fma_f32 v7, v5, v23, -v16
	v_fmac_f32_e32 v6, v4, v23
	global_load_dwordx2 v[14:15], v[12:13], off offset:472
	global_load_dwordx2 v[4:5], v[21:22], off
	global_load_dwordx2 v[10:11], v[10:11], off
	v_add_nc_u32_e32 v16, 0x3000, v237
	ds_write2_b64 v16, v[2:3], v[6:7] offset0:89 offset1:214
	global_load_dwordx2 v[2:3], v[0:1], off
	v_add_co_u32 v0, vcc_lo, v0, s0
	v_add_co_ci_u32_e32 v1, vcc_lo, s1, v1, vcc_lo
	global_load_dwordx2 v[12:13], v[12:13], off offset:1472
	global_load_dwordx2 v[0:1], v[0:1], off
	buffer_store_dword v27, off, s[20:23], 0 offset:56 ; 4-byte Folded Spill
	buffer_store_dword v28, off, s[20:23], 0 offset:60 ; 4-byte Folded Spill
	s_waitcnt vmcnt(5)
	buffer_store_dword v14, off, s[20:23], 0 offset:48 ; 4-byte Folded Spill
	buffer_store_dword v15, off, s[20:23], 0 offset:52 ; 4-byte Folded Spill
	;; [unrolled: 1-line block ×6, first 2 shown]
	s_waitcnt vmcnt(1)
	buffer_store_dword v12, off, s[20:23], 0 offset:32 ; 4-byte Folded Spill
	buffer_store_dword v13, off, s[20:23], 0 offset:36 ; 4-byte Folded Spill
	v_mul_f32_e32 v6, v8, v28
	s_load_dwordx4 s[0:3], s[2:3], 0x0
	v_fma_f32 v7, v9, v27, -v6
	v_mul_f32_e32 v6, v9, v28
	v_fmac_f32_e32 v6, v8, v27
	v_mov_b32_e32 v27, 3
	v_mul_f32_e32 v8, v4, v15
	v_fma_f32 v9, v5, v14, -v8
	v_mul_f32_e32 v8, v5, v15
	v_fmac_f32_e32 v8, v4, v14
	v_mul_f32_e32 v4, v10, v26
	v_fma_f32 v5, v11, v25, -v4
	v_mul_f32_e32 v4, v11, v26
	v_fmac_f32_e32 v4, v10, v25
	v_mul_f32_e32 v10, v2, v30
	v_fma_f32 v11, v3, v29, -v10
	v_mul_f32_e32 v10, v3, v30
	s_waitcnt vmcnt(0)
	v_mul_f32_e32 v3, v0, v13
	v_fmac_f32_e32 v10, v2, v29
	v_add_nc_u32_e32 v2, 0x4400, v237
	v_fma_f32 v3, v1, v12, -v3
	ds_write2_b64 v2, v[6:7], v[10:11] offset0:74 offset1:199
	v_mov_b32_e32 v235, v2
	v_mul_f32_e32 v2, v1, v13
	v_add_nc_u32_e32 v10, 0x5800, v237
	v_mov_b32_e32 v232, v235
	v_fmac_f32_e32 v2, v0, v12
	v_add_nc_u32_e32 v12, 0x3400, v237
	ds_write_b64 v237, v[4:5] offset:4000
	ds_write2_b64 v10, v[8:9], v[2:3] offset0:59 offset1:184
	s_waitcnt lgkmcnt(0)
	s_waitcnt_vscnt null, 0x0
	s_barrier
	buffer_gl0_inv
	ds_read2_b64 v[0:3], v255 offset0:116 offset1:241
	ds_read2_b64 v[8:11], v239 offset0:98 offset1:223
	ds_read2_b64 v[4:7], v12 offset0:86 offset1:211
	v_mov_b32_e32 v140, v12
	ds_read2_b64 v[12:15], v17 offset0:68 offset1:193
	s_waitcnt lgkmcnt(2)
	v_sub_f32_e32 v16, v2, v8
	s_waitcnt lgkmcnt(1)
	v_add_f32_e32 v21, v8, v6
	v_add_f32_e32 v22, v9, v7
	s_waitcnt lgkmcnt(0)
	v_sub_f32_e32 v17, v12, v6
	v_sub_f32_e32 v63, v8, v6
	;; [unrolled: 1-line block ×5, first 2 shown]
	v_add_f32_e32 v42, v16, v17
	ds_read2_b64 v[16:19], v237 offset1:125
	s_waitcnt lgkmcnt(0)
	v_fma_f32 v25, -0.5, v21, v16
	v_fma_f32 v26, -0.5, v22, v17
	v_sub_f32_e32 v21, v3, v9
	v_sub_f32_e32 v22, v13, v7
	v_fmamk_f32 v55, v60, 0x3f737871, v25
	v_fmamk_f32 v56, v61, 0xbf737871, v26
	v_fmac_f32_e32 v25, 0xbf737871, v60
	v_add_f32_e32 v59, v21, v22
	v_add_f32_e32 v21, v16, v2
	;; [unrolled: 1-line block ×3, first 2 shown]
	v_fmac_f32_e32 v26, 0x3f737871, v61
	v_fmac_f32_e32 v25, 0xbf167918, v62
	;; [unrolled: 1-line block ×3, first 2 shown]
	v_add_f32_e32 v21, v21, v8
	v_sub_f32_e32 v8, v8, v2
	v_add_f32_e32 v22, v22, v9
	v_add_f32_e32 v2, v2, v12
	v_fmac_f32_e32 v26, 0x3f167918, v63
	v_add_f32_e32 v21, v21, v6
	v_sub_f32_e32 v6, v6, v12
	v_add_f32_e32 v22, v22, v7
	v_fma_f32 v16, -0.5, v2, v16
	v_sub_f32_e32 v2, v9, v3
	v_add_f32_e32 v40, v21, v12
	v_add_f32_e32 v6, v8, v6
	;; [unrolled: 1-line block ×3, first 2 shown]
	v_mul_lo_u16 v21, v20, 5
	v_sub_f32_e32 v3, v7, v13
	v_add_f32_e32 v41, v22, v13
	v_fmac_f32_e32 v25, 0x3e9e377a, v42
	v_fma_f32 v17, -0.5, v8, v17
	v_lshlrev_b32_sdwa v65, v27, v21 dst_sel:DWORD dst_unused:UNUSED_PAD src0_sel:DWORD src1_sel:WORD_0
	ds_read_b64 v[57:58], v237 offset:24000
	ds_read2_b64 v[21:24], v254 offset0:110 offset1:235
	ds_read2_b64 v[28:31], v233 offset0:80 offset1:205
	;; [unrolled: 1-line block ×7, first 2 shown]
	v_add_f32_e32 v7, v2, v3
	v_fmamk_f32 v2, v62, 0xbf737871, v16
	v_fmac_f32_e32 v16, 0x3f737871, v62
	v_fmamk_f32 v3, v63, 0x3f737871, v17
	v_fmac_f32_e32 v17, 0xbf737871, v63
	s_waitcnt lgkmcnt(0)
	v_fmac_f32_e32 v2, 0x3f167918, v60
	v_fmac_f32_e32 v16, 0xbf167918, v60
	;; [unrolled: 1-line block ×4, first 2 shown]
	s_barrier
	v_fmac_f32_e32 v2, 0x3e9e377a, v6
	v_fmac_f32_e32 v16, 0x3e9e377a, v6
	;; [unrolled: 1-line block ×4, first 2 shown]
	buffer_gl0_inv
	v_add_f32_e32 v8, v18, v21
	v_sub_f32_e32 v6, v28, v14
	v_add_f32_e32 v9, v19, v22
	ds_write2_b64 v65, v[2:3], v[16:17] offset0:2 offset1:3
	v_add_f32_e32 v2, v10, v28
	v_add_f32_e32 v3, v21, v14
	v_sub_f32_e32 v12, v29, v15
	v_sub_f32_e32 v13, v11, v29
	;; [unrolled: 1-line block ×3, first 2 shown]
	v_fma_f32 v2, -0.5, v2, v18
	v_fma_f32 v18, -0.5, v3, v18
	v_sub_f32_e32 v3, v10, v21
	v_fmac_f32_e32 v26, 0x3e9e377a, v59
	v_sub_f32_e32 v17, v10, v28
	v_fmac_f32_e32 v56, 0xbf167918, v63
	v_fmac_f32_e32 v55, 0x3e9e377a, v42
	v_add_f32_e32 v7, v3, v6
	v_add_f32_e32 v3, v11, v29
	;; [unrolled: 1-line block ×3, first 2 shown]
	ds_write_b64 v65, v[25:26] offset:32
	v_sub_f32_e32 v25, v21, v14
	v_add_co_u32 v26, null, 0x7d, v64
	v_fma_f32 v3, -0.5, v3, v19
	v_fmac_f32_e32 v19, -0.5, v6
	v_sub_f32_e32 v6, v11, v22
	v_fmac_f32_e32 v56, 0x3e9e377a, v59
	v_add_co_u32 v42, null, 0xfa, v64
	buffer_store_dword v65, off, s[20:23], 0 offset:172 ; 4-byte Folded Spill
	v_add_f32_e32 v12, v6, v12
	v_fmamk_f32 v6, v13, 0xbf737871, v18
	v_fmac_f32_e32 v18, 0x3f737871, v13
	ds_write2_b64 v65, v[40:41], v[55:56] offset1:1
	buffer_store_dword v126, off, s[20:23], 0 offset:152 ; 4-byte Folded Spill
	v_fmac_f32_e32 v6, 0x3f167918, v16
	v_fmac_f32_e32 v18, 0xbf167918, v16
	;; [unrolled: 1-line block ×4, first 2 shown]
	v_fmamk_f32 v7, v17, 0x3f737871, v19
	v_fmac_f32_e32 v19, 0xbf737871, v17
	v_fmac_f32_e32 v7, 0xbf167918, v25
	;; [unrolled: 1-line block ×5, first 2 shown]
	v_mul_u32_u24_e32 v12, 5, v26
	v_lshlrev_b32_e32 v12, 3, v12
	ds_write2_b64 v12, v[6:7], v[18:19] offset0:2 offset1:3
	v_add_f32_e32 v6, v8, v10
	v_add_f32_e32 v7, v9, v11
	v_sub_f32_e32 v8, v21, v10
	v_sub_f32_e32 v9, v22, v11
	;; [unrolled: 1-line block ×4, first 2 shown]
	v_add_f32_e32 v6, v6, v28
	v_add_f32_e32 v7, v7, v29
	buffer_store_dword v12, off, s[20:23], 0 offset:176 ; 4-byte Folded Spill
	v_add_f32_e32 v10, v8, v10
	v_add_f32_e32 v11, v9, v11
	v_fmamk_f32 v8, v16, 0x3f737871, v2
	v_fmamk_f32 v9, v25, 0xbf737871, v3
	v_fmac_f32_e32 v2, 0xbf737871, v16
	v_fmac_f32_e32 v3, 0x3f737871, v25
	v_add_f32_e32 v6, v6, v14
	v_fmac_f32_e32 v8, 0x3f167918, v13
	v_fmac_f32_e32 v9, 0xbf167918, v17
	;; [unrolled: 1-line block ×4, first 2 shown]
	v_add_f32_e32 v7, v7, v15
	v_fmac_f32_e32 v8, 0x3e9e377a, v10
	v_fmac_f32_e32 v9, 0x3e9e377a, v11
	;; [unrolled: 1-line block ×4, first 2 shown]
	v_sub_f32_e32 v13, v23, v43
	v_sub_f32_e32 v14, v37, v31
	ds_write2_b64 v12, v[6:7], v[8:9] offset1:1
	v_sub_f32_e32 v6, v24, v37
	ds_write_b64 v12, v[2:3] offset:32
	v_sub_f32_e32 v2, v23, v36
	v_sub_f32_e32 v3, v43, v30
	;; [unrolled: 1-line block ×5, first 2 shown]
	v_mul_u32_u24_e32 v16, 5, v42
	v_add_f32_e32 v10, v2, v3
	v_add_f32_e32 v2, v36, v30
	;; [unrolled: 1-line block ×6, first 2 shown]
	v_fma_f32 v2, -0.5, v2, v32
	v_fma_f32 v3, -0.5, v3, v33
	v_lshlrev_b32_e32 v18, 3, v16
	v_add_f32_e32 v6, v6, v36
	v_add_f32_e32 v7, v7, v37
	v_fmamk_f32 v8, v12, 0x3f737871, v2
	v_fmamk_f32 v9, v13, 0xbf737871, v3
	v_sub_f32_e32 v16, v30, v43
	v_add_f32_e32 v6, v6, v30
	v_add_f32_e32 v7, v7, v31
	v_fmac_f32_e32 v8, 0x3f167918, v14
	v_fmac_f32_e32 v9, 0xbf167918, v15
	v_sub_f32_e32 v17, v31, v44
	v_add_f32_e32 v6, v6, v43
	v_add_f32_e32 v7, v7, v44
	v_fmac_f32_e32 v8, 0x3e9e377a, v10
	v_fmac_f32_e32 v9, 0x3e9e377a, v11
	;; [unrolled: 1-line block ×4, first 2 shown]
	buffer_store_dword v18, off, s[20:23], 0 offset:180 ; 4-byte Folded Spill
	v_sub_f32_e32 v21, v4, v53
	ds_write2_b64 v18, v[6:7], v[8:9] offset1:1
	v_add_f32_e32 v6, v23, v43
	v_sub_f32_e32 v7, v36, v23
	v_add_f32_e32 v8, v24, v44
	v_sub_f32_e32 v9, v37, v24
	v_fmac_f32_e32 v2, 0xbf167918, v14
	v_fma_f32 v6, -0.5, v6, v32
	v_add_f32_e32 v16, v7, v16
	v_fma_f32 v7, -0.5, v8, v33
	v_add_f32_e32 v17, v9, v17
	v_fmac_f32_e32 v3, 0x3f167918, v15
	v_fmamk_f32 v8, v14, 0xbf737871, v6
	v_fmac_f32_e32 v6, 0x3f737871, v14
	v_fmamk_f32 v9, v15, 0x3f737871, v7
	v_fmac_f32_e32 v7, 0xbf737871, v15
	v_fmac_f32_e32 v2, 0x3e9e377a, v10
	;; [unrolled: 1-line block ×11, first 2 shown]
	ds_write_b64 v18, v[2:3] offset:32
	v_add_f32_e32 v2, v38, v51
	v_add_f32_e32 v3, v47, v45
	v_sub_f32_e32 v12, v39, v52
	ds_write2_b64 v18, v[8:9], v[6:7] offset0:2 offset1:3
	v_add_f32_e32 v8, v34, v47
	v_fma_f32 v2, -0.5, v2, v34
	v_fma_f32 v34, -0.5, v3, v34
	v_sub_f32_e32 v3, v38, v47
	v_sub_f32_e32 v6, v51, v45
	;; [unrolled: 1-line block ×3, first 2 shown]
	v_add_f32_e32 v9, v35, v48
	v_sub_f32_e32 v10, v52, v46
	v_sub_f32_e32 v14, v38, v51
	v_add_f32_e32 v7, v3, v6
	v_fmamk_f32 v6, v12, 0xbf737871, v34
	v_fmac_f32_e32 v34, 0x3f737871, v12
	v_add_f32_e32 v3, v39, v52
	v_sub_f32_e32 v15, v47, v45
	v_sub_f32_e32 v11, v46, v52
	v_fmac_f32_e32 v6, 0x3f167918, v13
	v_fmac_f32_e32 v34, 0xbf167918, v13
	v_fma_f32 v3, -0.5, v3, v35
	v_sub_f32_e32 v22, v49, v57
	v_sub_f32_e32 v23, v50, v58
	v_fmac_f32_e32 v6, 0x3e9e377a, v7
	v_fmac_f32_e32 v34, 0x3e9e377a, v7
	v_add_f32_e32 v7, v48, v46
	v_sub_f32_e32 v24, v4, v49
	v_sub_f32_e32 v25, v50, v5
	;; [unrolled: 1-line block ×3, first 2 shown]
	v_fmac_f32_e32 v35, -0.5, v7
	v_sub_f32_e32 v7, v39, v48
	v_add_f32_e32 v10, v7, v10
	v_fmamk_f32 v7, v14, 0x3f737871, v35
	v_fmac_f32_e32 v35, 0xbf737871, v14
	v_fmac_f32_e32 v7, 0xbf167918, v15
	;; [unrolled: 1-line block ×5, first 2 shown]
	v_mul_u32_u24_e32 v10, 5, v162
	v_lshlrev_b32_e32 v10, 3, v10
	ds_write2_b64 v10, v[6:7], v[34:35] offset0:2 offset1:3
	v_mov_b32_e32 v18, v10
	v_add_f32_e32 v6, v8, v38
	v_add_f32_e32 v7, v9, v39
	v_sub_f32_e32 v8, v47, v38
	v_sub_f32_e32 v9, v48, v39
	;; [unrolled: 1-line block ×3, first 2 shown]
	v_add_f32_e32 v6, v6, v51
	v_add_f32_e32 v7, v7, v52
	v_mov_b32_e32 v29, v18
	v_add_f32_e32 v17, v9, v11
	v_add_f32_e32 v16, v8, v10
	v_fmamk_f32 v8, v13, 0x3f737871, v2
	v_fmamk_f32 v9, v15, 0xbf737871, v3
	v_add_f32_e32 v6, v6, v45
	v_add_f32_e32 v7, v7, v46
	v_fmac_f32_e32 v2, 0xbf737871, v13
	v_fmac_f32_e32 v8, 0x3f167918, v12
	;; [unrolled: 1-line block ×4, first 2 shown]
	buffer_store_dword v29, off, s[20:23], 0 offset:188 ; 4-byte Folded Spill
	v_fmac_f32_e32 v2, 0xbf167918, v12
	v_fmac_f32_e32 v8, 0x3e9e377a, v16
	;; [unrolled: 1-line block ×4, first 2 shown]
	v_add_f32_e32 v12, v25, v28
	v_fmac_f32_e32 v2, 0x3e9e377a, v16
	ds_write2_b64 v18, v[6:7], v[8:9] offset1:1
	v_add_f32_e32 v7, v5, v54
	v_add_f32_e32 v8, v50, v58
	;; [unrolled: 1-line block ×3, first 2 shown]
	v_sub_f32_e32 v9, v54, v58
	v_add_f32_e32 v6, v4, v53
	v_fma_f32 v7, -0.5, v7, v1
	v_fmac_f32_e32 v1, -0.5, v8
	v_sub_f32_e32 v8, v5, v50
	v_fmac_f32_e32 v3, 0x3e9e377a, v17
	v_fma_f32 v6, -0.5, v6, v0
	v_add_f32_e32 v19, v8, v9
	v_fmamk_f32 v9, v21, 0x3f737871, v1
	v_fmac_f32_e32 v1, 0xbf737871, v21
	v_add_f32_e32 v8, v49, v57
	ds_write_b64 v29, v[2:3] offset:32
	v_fmamk_f32 v2, v23, 0x3f737871, v6
	v_fmamk_f32 v3, v22, 0xbf737871, v7
	v_fmac_f32_e32 v1, 0x3f167918, v22
	v_fma_f32 v10, -0.5, v8, v0
	v_add_f32_e32 v0, v0, v49
	v_sub_f32_e32 v8, v49, v4
	v_fmac_f32_e32 v3, 0xbf167918, v21
	v_fmac_f32_e32 v1, 0x3e9e377a, v19
	;; [unrolled: 1-line block ×3, first 2 shown]
	v_add_f32_e32 v0, v0, v4
	v_sub_f32_e32 v4, v5, v54
	v_fmac_f32_e32 v3, 0x3e9e377a, v12
	v_mov_b32_e32 v11, v1
	v_add_f32_e32 v1, v18, v5
	v_sub_f32_e32 v5, v57, v53
	v_add_f32_e32 v0, v0, v53
	v_fmac_f32_e32 v2, 0x3f167918, v4
	v_sub_f32_e32 v18, v53, v57
	v_add_f32_e32 v1, v1, v54
	v_add_f32_e32 v5, v8, v5
	v_mul_u32_u24_e32 v8, 5, v163
	v_add_f32_e32 v0, v0, v57
	v_fmac_f32_e32 v7, 0x3f737871, v22
	v_add_f32_e32 v1, v1, v58
	v_fmac_f32_e32 v2, 0x3e9e377a, v5
	v_lshlrev_b32_e32 v13, 3, v8
	v_fmamk_f32 v8, v4, 0xbf737871, v10
	v_fmac_f32_e32 v10, 0x3f737871, v4
	v_and_b32_e32 v22, 0xff, v20
	v_fmac_f32_e32 v7, 0x3f167918, v21
	ds_write2_b64 v13, v[0:1], v[2:3] offset1:1
	v_add_f32_e32 v0, v24, v18
	v_fmac_f32_e32 v8, 0x3f167918, v23
	v_fmac_f32_e32 v10, 0xbf167918, v23
	v_and_b32_e32 v21, 0xff, v26
	v_fmac_f32_e32 v6, 0xbf737871, v23
	v_fmac_f32_e32 v9, 0x3e9e377a, v19
	v_fmac_f32_e32 v8, 0x3e9e377a, v0
	v_fmac_f32_e32 v10, 0x3e9e377a, v0
	v_mul_lo_u16 v0, 0xcd, v22
	v_fmac_f32_e32 v6, 0xbf167918, v4
	v_fmac_f32_e32 v7, 0x3e9e377a, v12
	buffer_store_dword v13, off, s[20:23], 0 offset:184 ; 4-byte Folded Spill
	ds_write2_b64 v13, v[8:9], v[10:11] offset0:2 offset1:3
	v_lshrrev_b16 v17, 10, v0
	v_mul_lo_u16 v0, 0xcd, v21
	v_fmac_f32_e32 v6, 0x3e9e377a, v5
	v_mov_b32_e32 v8, 25
	v_mov_b32_e32 v4, 0xcccd
	v_lshrrev_b16 v29, 10, v0
	v_mul_lo_u16 v0, v17, 5
	ds_write_b64 v13, v[6:7] offset:32
	s_waitcnt lgkmcnt(0)
	s_waitcnt_vscnt null, 0x0
	s_barrier
	buffer_gl0_inv
	v_sub_nc_u16 v0, v20, v0
	v_mul_lo_u16 v1, v29, 5
	v_mul_u32_u24_sdwa v5, v42, v4 dst_sel:DWORD dst_unused:UNUSED_PAD src0_sel:WORD_0 src1_sel:DWORD
	v_mul_u32_u24_sdwa v6, v162, v4 dst_sel:DWORD dst_unused:UNUSED_PAD src0_sel:WORD_0 src1_sel:DWORD
	;; [unrolled: 1-line block ×3, first 2 shown]
	v_and_b32_e32 v16, 0xff, v0
	v_sub_nc_u16 v1, v26, v1
	v_lshrrev_b32_e32 v15, 18, v5
	v_lshlrev_b32_e32 v0, 5, v16
	s_clause 0x1
	global_load_dwordx4 v[228:231], v0, s[10:11]
	global_load_dwordx4 v[220:223], v0, s[10:11] offset:16
	ds_read2_b64 v[33:36], v239 offset0:98 offset1:223
	v_and_b32_e32 v30, 0xff, v1
	s_waitcnt vmcnt(1) lgkmcnt(0)
	v_mul_f32_e32 v0, v34, v231
	v_mul_f32_e32 v31, v33, v231
	v_fma_f32 v32, v33, v230, -v0
	v_lshlrev_b32_e32 v0, 5, v30
	s_clause 0x1
	global_load_dwordx4 v[224:227], v0, s[10:11]
	global_load_dwordx4 v[216:219], v0, s[10:11] offset:16
	v_fmac_f32_e32 v31, v34, v230
	s_waitcnt vmcnt(1)
	v_mul_f32_e32 v0, v36, v227
	v_mul_f32_e32 v23, v35, v227
	v_fma_f32 v24, v35, v226, -v0
	v_fmac_f32_e32 v23, v36, v226
	ds_read2_b64 v[35:38], v141 offset0:68 offset1:193
	s_waitcnt lgkmcnt(0)
	v_mul_f32_e32 v0, v36, v223
	v_mul_f32_e32 v33, v35, v223
	s_waitcnt vmcnt(0)
	v_mul_f32_e32 v25, v37, v219
	v_fma_f32 v34, v35, v222, -v0
	v_mul_f32_e32 v0, v38, v219
	v_fmac_f32_e32 v33, v36, v222
	v_fmac_f32_e32 v25, v38, v218
	v_fma_f32 v28, v37, v218, -v0
	v_mul_u32_u24_sdwa v0, v17, v8 dst_sel:DWORD dst_unused:UNUSED_PAD src0_sel:WORD_0 src1_sel:DWORD
	ds_read2_b64 v[35:38], v140 offset0:86 offset1:211
	v_add_lshl_u32 v101, v0, v16, 3
	ds_read2_b64 v[16:19], v255 offset0:116 offset1:241
	s_waitcnt lgkmcnt(1)
	v_mul_f32_e32 v12, v37, v221
	s_waitcnt lgkmcnt(0)
	v_mul_f32_e32 v0, v19, v229
	v_mul_f32_e32 v13, v18, v229
	v_fmac_f32_e32 v12, v38, v220
	v_fma_f32 v9, v18, v228, -v0
	v_fmac_f32_e32 v13, v19, v228
	v_lshrrev_b32_e32 v18, 18, v6
	v_lshrrev_b32_e32 v19, 18, v4
	v_mul_lo_u16 v4, v15, 5
	v_mul_f32_e32 v0, v38, v221
	v_sub_f32_e32 v2, v13, v31
	v_sub_f32_e32 v3, v33, v12
	;; [unrolled: 1-line block ×3, first 2 shown]
	v_sub_nc_u16 v41, v42, v4
	v_mul_lo_u16 v4, v18, 5
	v_fma_f32 v10, v37, v220, -v0
	ds_read2_b64 v[37:40], v237 offset1:125
	v_sub_f32_e32 v0, v9, v32
	v_add_f32_e32 v14, v2, v3
	v_sub_nc_u16 v71, v162, v4
	v_mul_lo_u16 v4, v19, 5
	v_sub_f32_e32 v1, v34, v10
	v_sub_f32_e32 v74, v9, v34
	;; [unrolled: 1-line block ×4, first 2 shown]
	v_sub_nc_u16 v72, v163, v4
	v_lshlrev_b16 v4, 2, v41
	v_add_f32_e32 v11, v0, v1
	v_add_f32_e32 v0, v32, v10
	;; [unrolled: 1-line block ×3, first 2 shown]
	v_lshlrev_b16 v6, 2, v72
	v_lshlrev_b32_sdwa v43, v27, v4 dst_sel:DWORD dst_unused:UNUSED_PAD src0_sel:DWORD src1_sel:WORD_0
	v_lshlrev_b16 v4, 2, v71
	v_lshlrev_b32_sdwa v45, v27, v6 dst_sel:DWORD dst_unused:UNUSED_PAD src0_sel:DWORD src1_sel:WORD_0
	ds_read_b64 v[6:7], v237 offset:24000
	v_lshlrev_b32_sdwa v44, v27, v4 dst_sel:DWORD dst_unused:UNUSED_PAD src0_sel:DWORD src1_sel:WORD_0
	s_clause 0x5
	global_load_dwordx4 v[76:79], v43, s[10:11]
	global_load_dwordx4 v[88:91], v43, s[10:11] offset:16
	global_load_dwordx4 v[80:83], v44, s[10:11]
	global_load_dwordx4 v[92:95], v44, s[10:11] offset:16
	global_load_dwordx4 v[84:87], v45, s[10:11]
	global_load_dwordx4 v[96:99], v45, s[10:11] offset:16
	s_waitcnt lgkmcnt(1)
	v_fma_f32 v0, -0.5, v0, v37
	v_fma_f32 v1, -0.5, v1, v38
	v_add_f32_e32 v2, v37, v9
	v_add_f32_e32 v3, v38, v13
	ds_read2_b64 v[43:46], v254 offset0:110 offset1:235
	ds_read2_b64 v[47:50], v233 offset0:80 offset1:205
	;; [unrolled: 1-line block ×7, first 2 shown]
	v_fmamk_f32 v4, v73, 0x3f737871, v0
	v_fmamk_f32 v5, v74, 0xbf737871, v1
	v_add_f32_e32 v2, v2, v32
	v_add_f32_e32 v3, v3, v31
	s_waitcnt vmcnt(0) lgkmcnt(0)
	v_fmac_f32_e32 v4, 0x3f167918, v75
	v_fmac_f32_e32 v5, 0xbf167918, v100
	v_add_f32_e32 v2, v2, v10
	v_add_f32_e32 v3, v3, v12
	s_barrier
	v_fmac_f32_e32 v4, 0x3e9e377a, v11
	v_fmac_f32_e32 v5, 0x3e9e377a, v14
	v_add_f32_e32 v2, v2, v34
	v_add_f32_e32 v3, v3, v33
	buffer_gl0_inv
	v_fmac_f32_e32 v0, 0xbf737871, v73
	v_fmac_f32_e32 v1, 0x3f737871, v74
	buffer_store_dword v101, off, s[20:23], 0 offset:192 ; 4-byte Folded Spill
	ds_write2_b64 v101, v[2:3], v[4:5] offset1:5
	v_sub_f32_e32 v2, v32, v9
	v_sub_f32_e32 v3, v10, v34
	v_add_f32_e32 v4, v9, v34
	v_add_f32_e32 v9, v13, v33
	v_sub_f32_e32 v5, v31, v13
	v_sub_f32_e32 v10, v12, v33
	v_add_f32_e32 v12, v2, v3
	v_fma_f32 v2, -0.5, v4, v37
	v_fma_f32 v3, -0.5, v9, v38
	v_fmac_f32_e32 v0, 0xbf167918, v75
	v_fmac_f32_e32 v1, 0x3f167918, v100
	v_add_f32_e32 v9, v5, v10
	v_fmamk_f32 v4, v75, 0xbf737871, v2
	v_fmac_f32_e32 v2, 0x3f737871, v75
	v_fmamk_f32 v5, v100, 0x3f737871, v3
	v_fmac_f32_e32 v3, 0xbf737871, v100
	v_fmac_f32_e32 v0, 0x3e9e377a, v11
	;; [unrolled: 1-line block ×7, first 2 shown]
	ds_write_b64 v101, v[0:1] offset:160
	v_mul_u32_u24_sdwa v0, v29, v8 dst_sel:DWORD dst_unused:UNUSED_PAD src0_sel:WORD_0 src1_sel:DWORD
	v_fmac_f32_e32 v4, 0x3e9e377a, v12
	v_fmac_f32_e32 v2, 0x3e9e377a, v12
	;; [unrolled: 1-line block ×4, first 2 shown]
	v_add_lshl_u32 v73, v0, v30, 3
	v_mul_f32_e32 v0, v48, v217
	v_mul_f32_e32 v9, v47, v217
	;; [unrolled: 1-line block ×3, first 2 shown]
	ds_write2_b64 v101, v[4:5], v[2:3] offset0:10 offset1:15
	buffer_store_dword v73, off, s[20:23], 0 offset:232 ; 4-byte Folded Spill
	v_fma_f32 v4, v47, v216, -v0
	v_mul_f32_e32 v0, v44, v225
	v_fmac_f32_e32 v9, v48, v216
	v_fmac_f32_e32 v10, v44, v224
	v_sub_f32_e32 v2, v4, v28
	v_fma_f32 v5, v43, v224, -v0
	v_add_f32_e32 v0, v24, v4
	v_add_f32_e32 v11, v40, v10
	v_sub_f32_e32 v12, v9, v25
	v_sub_f32_e32 v13, v23, v9
	v_add_f32_e32 v1, v5, v28
	v_add_f32_e32 v8, v39, v5
	v_fma_f32 v0, -0.5, v0, v39
	v_sub_f32_e32 v14, v10, v25
	v_sub_f32_e32 v29, v24, v4
	v_fma_f32 v39, -0.5, v1, v39
	v_sub_f32_e32 v1, v24, v5
	v_sub_f32_e32 v30, v5, v28
	;; [unrolled: 1-line block ×3, first 2 shown]
	v_add_f32_e32 v3, v1, v2
	v_add_f32_e32 v1, v23, v9
	;; [unrolled: 1-line block ×3, first 2 shown]
	v_fma_f32 v1, -0.5, v1, v40
	v_fmac_f32_e32 v40, -0.5, v2
	v_sub_f32_e32 v2, v23, v10
	v_add_f32_e32 v12, v2, v12
	v_fmamk_f32 v2, v13, 0xbf737871, v39
	v_fmac_f32_e32 v39, 0x3f737871, v13
	v_fmac_f32_e32 v2, 0x3f167918, v14
	v_fmac_f32_e32 v39, 0xbf167918, v14
	v_fmac_f32_e32 v2, 0x3e9e377a, v3
	v_fmac_f32_e32 v39, 0x3e9e377a, v3
	v_fmamk_f32 v3, v29, 0x3f737871, v40
	v_fmac_f32_e32 v40, 0xbf737871, v29
	v_fmac_f32_e32 v3, 0xbf167918, v30
	;; [unrolled: 1-line block ×5, first 2 shown]
	ds_write2_b64 v73, v[2:3], v[39:40] offset0:10 offset1:15
	v_add_f32_e32 v3, v11, v23
	v_add_f32_e32 v3, v3, v9
	v_sub_f32_e32 v9, v25, v9
	v_add_f32_e32 v3, v3, v25
	v_mul_f32_e32 v2, v46, v77
	v_mul_f32_e32 v33, v49, v89
	;; [unrolled: 1-line block ×5, first 2 shown]
	v_fma_f32 v12, v45, v76, -v2
	v_mul_f32_e32 v2, v50, v89
	v_fmac_f32_e32 v33, v50, v88
	v_fmac_f32_e32 v37, v52, v78
	v_fmac_f32_e32 v31, v46, v76
	v_fmac_f32_e32 v43, v56, v90
	v_fma_f32 v32, v49, v88, -v2
	v_mul_f32_e32 v2, v52, v79
	v_mul_f32_e32 v39, v53, v83
	;; [unrolled: 1-line block ×3, first 2 shown]
	v_sub_f32_e32 v11, v31, v43
	v_mul_f32_e32 v25, v35, v87
	v_fma_f32 v34, v51, v78, -v2
	v_mul_f32_e32 v2, v54, v83
	v_fmac_f32_e32 v39, v54, v82
	v_fmac_f32_e32 v45, v58, v94
	v_fmac_f32_e32 v25, v36, v86
	v_fma_f32 v38, v53, v82, -v2
	v_mul_f32_e32 v2, v56, v91
	v_fma_f32 v40, v55, v90, -v2
	v_mul_f32_e32 v2, v58, v95
	v_fma_f32 v44, v57, v94, -v2
	v_add_f32_e32 v2, v8, v24
	v_sub_f32_e32 v8, v10, v23
	v_add_f32_e32 v2, v2, v4
	v_sub_f32_e32 v4, v28, v4
	v_add_f32_e32 v8, v8, v9
	v_add_f32_e32 v2, v2, v28
	;; [unrolled: 1-line block ×3, first 2 shown]
	v_fmamk_f32 v4, v14, 0x3f737871, v0
	v_fmamk_f32 v5, v30, 0xbf737871, v1
	v_fmac_f32_e32 v0, 0xbf737871, v14
	v_fmac_f32_e32 v1, 0x3f737871, v30
	v_sub_f32_e32 v14, v12, v40
	v_fmac_f32_e32 v4, 0x3f167918, v13
	v_fmac_f32_e32 v5, 0xbf167918, v29
	;; [unrolled: 1-line block ×4, first 2 shown]
	v_sub_f32_e32 v13, v37, v33
	v_fmac_f32_e32 v4, 0x3e9e377a, v10
	v_fmac_f32_e32 v5, 0x3e9e377a, v8
	;; [unrolled: 1-line block ×4, first 2 shown]
	v_mad_u16 v10, v15, 25, v41
	v_sub_f32_e32 v15, v34, v32
	ds_write2_b64 v73, v[2:3], v[4:5] offset1:5
	v_add_f32_e32 v2, v34, v32
	ds_write_b64 v73, v[0:1] offset:160
	v_sub_f32_e32 v0, v12, v34
	v_sub_f32_e32 v1, v40, v32
	v_add_f32_e32 v3, v37, v33
	v_fma_f32 v2, -0.5, v2, v67
	v_sub_f32_e32 v4, v31, v37
	v_sub_f32_e32 v5, v43, v33
	v_add_f32_e32 v8, v0, v1
	v_add_f32_e32 v0, v67, v12
	;; [unrolled: 1-line block ×3, first 2 shown]
	v_fma_f32 v3, -0.5, v3, v68
	v_add_f32_e32 v9, v4, v5
	v_fmamk_f32 v4, v11, 0x3f737871, v2
	v_add_f32_e32 v0, v0, v34
	v_add_f32_e32 v1, v1, v37
	v_fmamk_f32 v5, v14, 0xbf737871, v3
	v_lshlrev_b32_sdwa v10, v27, v10 dst_sel:DWORD dst_unused:UNUSED_PAD src0_sel:DWORD src1_sel:WORD_0
	v_fmac_f32_e32 v4, 0x3f167918, v13
	v_add_f32_e32 v0, v0, v32
	v_add_f32_e32 v1, v1, v33
	v_fmac_f32_e32 v5, 0xbf167918, v15
	v_mov_b32_e32 v23, v10
	v_fmac_f32_e32 v4, 0x3e9e377a, v8
	v_add_f32_e32 v0, v0, v40
	v_add_f32_e32 v1, v1, v43
	v_fmac_f32_e32 v5, 0x3e9e377a, v9
	v_fmac_f32_e32 v3, 0x3f737871, v14
	;; [unrolled: 1-line block ×3, first 2 shown]
	buffer_store_dword v23, off, s[20:23], 0 offset:244 ; 4-byte Folded Spill
	v_mul_f32_e32 v29, v65, v97
	ds_write2_b64 v10, v[0:1], v[4:5] offset1:5
	v_sub_f32_e32 v0, v34, v12
	v_sub_f32_e32 v1, v32, v40
	v_add_f32_e32 v4, v12, v40
	v_sub_f32_e32 v10, v37, v31
	v_sub_f32_e32 v12, v33, v43
	v_fmac_f32_e32 v3, 0x3f167918, v15
	v_add_f32_e32 v5, v0, v1
	v_fma_f32 v0, -0.5, v4, v67
	v_add_f32_e32 v1, v31, v43
	v_add_f32_e32 v10, v10, v12
	v_fmac_f32_e32 v2, 0xbf167918, v13
	v_fmac_f32_e32 v3, 0x3e9e377a, v9
	v_fmamk_f32 v4, v13, 0xbf737871, v0
	v_fmac_f32_e32 v0, 0x3f737871, v13
	v_fma_f32 v1, -0.5, v1, v68
	v_mul_f32_e32 v9, v63, v93
	v_fmac_f32_e32 v2, 0x3e9e377a, v8
	v_fmac_f32_e32 v4, 0x3f167918, v11
	;; [unrolled: 1-line block ×5, first 2 shown]
	ds_write_b64 v23, v[2:3] offset:160
	v_fmac_f32_e32 v4, 0x3e9e377a, v5
	v_fmac_f32_e32 v0, 0x3e9e377a, v5
	v_fmamk_f32 v5, v15, 0x3f737871, v1
	v_fmac_f32_e32 v1, 0xbf737871, v15
	v_sub_f32_e32 v11, v39, v9
	v_mad_u16 v15, v18, 25, v71
	v_fmac_f32_e32 v5, 0xbf167918, v14
	v_fmac_f32_e32 v1, 0x3f167918, v14
	v_sub_f32_e32 v14, v9, v45
	v_lshlrev_b32_sdwa v30, v27, v15 dst_sel:DWORD dst_unused:UNUSED_PAD src0_sel:DWORD src1_sel:WORD_0
	v_mul_f32_e32 v15, v61, v85
	v_fmac_f32_e32 v5, 0x3e9e377a, v10
	v_fmac_f32_e32 v1, 0x3e9e377a, v10
	v_mul_f32_e32 v10, v59, v81
	buffer_store_dword v30, off, s[20:23], 0 offset:256 ; 4-byte Folded Spill
	v_fmac_f32_e32 v15, v62, v84
	ds_write2_b64 v23, v[4:5], v[0:1] offset0:10 offset1:15
	v_mul_f32_e32 v0, v64, v93
	v_fmac_f32_e32 v10, v60, v80
	v_fma_f32 v4, v63, v92, -v0
	v_mul_f32_e32 v0, v60, v81
	v_sub_f32_e32 v12, v10, v45
	v_add_f32_e32 v3, v10, v45
	v_add_f32_e32 v13, v70, v10
	v_sub_f32_e32 v2, v4, v44
	v_fma_f32 v5, v59, v80, -v0
	v_add_f32_e32 v0, v38, v4
	v_sub_f32_e32 v18, v38, v4
	v_mov_b32_e32 v63, 0x7d
	v_add_f32_e32 v1, v5, v44
	v_add_f32_e32 v8, v69, v5
	v_fma_f32 v0, -0.5, v0, v69
	v_sub_f32_e32 v23, v5, v44
	v_fma_f32 v69, -0.5, v1, v69
	v_sub_f32_e32 v1, v38, v5
	v_sub_f32_e32 v5, v5, v38
	v_add_f32_e32 v1, v1, v2
	v_fmamk_f32 v2, v11, 0xbf737871, v69
	v_fmac_f32_e32 v69, 0x3f737871, v11
	v_fmac_f32_e32 v2, 0x3f167918, v12
	v_fmac_f32_e32 v69, 0xbf167918, v12
	v_fmac_f32_e32 v2, 0x3e9e377a, v1
	v_fmac_f32_e32 v69, 0x3e9e377a, v1
	v_add_f32_e32 v1, v39, v9
	v_fma_f32 v1, -0.5, v1, v70
	v_fmac_f32_e32 v70, -0.5, v3
	v_sub_f32_e32 v3, v39, v10
	v_add_f32_e32 v14, v3, v14
	v_fmamk_f32 v3, v18, 0x3f737871, v70
	v_fmac_f32_e32 v70, 0xbf737871, v18
	v_fmac_f32_e32 v3, 0xbf167918, v23
	;; [unrolled: 1-line block ×5, first 2 shown]
	ds_write2_b64 v30, v[2:3], v[69:70] offset0:10 offset1:15
	v_mul_f32_e32 v2, v62, v85
	v_add_f32_e32 v3, v13, v39
	v_fma_f32 v14, v61, v84, -v2
	v_mul_f32_e32 v2, v36, v87
	v_add_f32_e32 v3, v3, v9
	v_sub_f32_e32 v9, v45, v9
	v_fma_f32 v24, v35, v86, -v2
	v_mul_f32_e32 v2, v66, v97
	v_add_f32_e32 v3, v3, v45
	v_fma_f32 v28, v65, v96, -v2
	v_add_f32_e32 v2, v8, v38
	v_sub_f32_e32 v8, v10, v39
	v_add_f32_e32 v2, v2, v4
	v_sub_f32_e32 v4, v44, v4
	v_add_f32_e32 v8, v8, v9
	v_add_f32_e32 v9, v17, v15
	;; [unrolled: 1-line block ×4, first 2 shown]
	v_fmamk_f32 v4, v12, 0x3f737871, v0
	v_fmamk_f32 v5, v23, 0xbf737871, v1
	v_fmac_f32_e32 v0, 0xbf737871, v12
	v_fmac_f32_e32 v1, 0x3f737871, v23
	v_sub_f32_e32 v12, v24, v28
	v_fmac_f32_e32 v4, 0x3f167918, v11
	v_fmac_f32_e32 v5, 0xbf167918, v18
	;; [unrolled: 1-line block ×4, first 2 shown]
	v_mad_u16 v11, v19, 25, v72
	v_fmac_f32_e32 v4, 0x3e9e377a, v10
	v_fmac_f32_e32 v5, 0x3e9e377a, v8
	v_fmac_f32_e32 v0, 0x3e9e377a, v10
	v_fmac_f32_e32 v1, 0x3e9e377a, v8
	ds_write2_b64 v30, v[2:3], v[4:5] offset1:5
	v_mul_f32_e32 v2, v7, v99
	v_mul_f32_e32 v5, v6, v99
	ds_write_b64 v30, v[0:1] offset:160
	v_add_f32_e32 v0, v24, v28
	v_fma_f32 v4, v6, v98, -v2
	v_fmac_f32_e32 v5, v7, v98
	v_add_f32_e32 v6, v16, v14
	v_fma_f32 v0, -0.5, v0, v16
	v_sub_f32_e32 v7, v25, v29
	v_add_f32_e32 v1, v14, v4
	v_sub_f32_e32 v2, v28, v4
	v_sub_f32_e32 v8, v15, v5
	v_add_f32_e32 v3, v15, v5
	v_sub_f32_e32 v10, v29, v5
	v_fma_f32 v16, -0.5, v1, v16
	v_sub_f32_e32 v1, v24, v14
	v_sub_f32_e32 v13, v14, v4
	v_add_f32_e32 v1, v1, v2
	v_fmamk_f32 v2, v7, 0xbf737871, v16
	v_fmac_f32_e32 v16, 0x3f737871, v7
	v_fmac_f32_e32 v2, 0x3f167918, v8
	;; [unrolled: 1-line block ×5, first 2 shown]
	v_add_f32_e32 v1, v25, v29
	v_fma_f32 v1, -0.5, v1, v17
	v_fmac_f32_e32 v17, -0.5, v3
	v_sub_f32_e32 v3, v25, v15
	v_add_f32_e32 v10, v3, v10
	v_fmamk_f32 v3, v12, 0x3f737871, v17
	v_fmac_f32_e32 v17, 0xbf737871, v12
	v_fmac_f32_e32 v3, 0xbf167918, v13
	;; [unrolled: 1-line block ×5, first 2 shown]
	v_lshlrev_b32_sdwa v10, v27, v11 dst_sel:DWORD dst_unused:UNUSED_PAD src0_sel:DWORD src1_sel:WORD_0
	ds_write2_b64 v10, v[2:3], v[16:17] offset0:10 offset1:15
	v_add_f32_e32 v2, v6, v24
	v_add_f32_e32 v3, v9, v25
	v_sub_f32_e32 v6, v4, v28
	v_mov_b32_e32 v11, v10
	v_sub_f32_e32 v10, v14, v24
	v_add_f32_e32 v2, v2, v28
	v_add_f32_e32 v3, v3, v29
	buffer_store_dword v11, off, s[20:23], 0 offset:252 ; 4-byte Folded Spill
	v_add_f32_e32 v6, v10, v6
	v_add_f32_e32 v2, v2, v4
	;; [unrolled: 1-line block ×3, first 2 shown]
	v_sub_f32_e32 v4, v15, v25
	v_sub_f32_e32 v5, v5, v29
	v_add_f32_e32 v9, v4, v5
	v_fmamk_f32 v4, v8, 0x3f737871, v0
	v_fmamk_f32 v5, v13, 0xbf737871, v1
	v_fmac_f32_e32 v0, 0xbf737871, v8
	v_fmac_f32_e32 v1, 0x3f737871, v13
	;; [unrolled: 1-line block ×10, first 2 shown]
	ds_write2_b64 v11, v[2:3], v[4:5] offset1:5
	ds_write_b64 v11, v[0:1] offset:160
	v_mul_lo_u16 v0, v22, 41
	s_waitcnt lgkmcnt(0)
	s_waitcnt_vscnt null, 0x0
	s_barrier
	buffer_gl0_inv
	v_mul_lo_u16 v1, v21, 41
	v_lshrrev_b16 v22, 10, v0
	v_lshrrev_b16 v21, 10, v1
	v_mul_lo_u16 v0, v22, 25
	v_mul_lo_u16 v1, v21, 25
	v_sub_nc_u16 v0, v20, v0
	v_sub_nc_u16 v1, v26, v1
	v_and_b32_e32 v23, 0xff, v0
	v_and_b32_e32 v20, 0xff, v1
	v_lshlrev_b32_e32 v24, 5, v23
	s_clause 0x1
	global_load_dwordx4 v[212:215], v24, s[10:11] offset:160
	global_load_dwordx4 v[104:107], v24, s[10:11] offset:176
	ds_read2_b64 v[28:31], v239 offset0:98 offset1:223
	s_waitcnt vmcnt(1) lgkmcnt(0)
	v_mul_f32_e32 v0, v29, v215
	v_mul_f32_e32 v13, v28, v215
	v_fma_f32 v12, v28, v214, -v0
	v_lshlrev_b32_e32 v0, 5, v20
	s_clause 0x1
	global_load_dwordx4 v[100:103], v0, s[10:11] offset:160
	global_load_dwordx4 v[108:111], v0, s[10:11] offset:176
	v_fmac_f32_e32 v13, v29, v214
	s_waitcnt vmcnt(1)
	v_mul_f32_e32 v0, v31, v103
	v_mul_f32_e32 v15, v30, v103
	v_fma_f32 v14, v30, v102, -v0
	v_fmac_f32_e32 v15, v31, v102
	ds_read2_b64 v[28:31], v141 offset0:68 offset1:193
	s_waitcnt lgkmcnt(0)
	v_mul_f32_e32 v0, v29, v107
	v_mul_f32_e32 v17, v28, v107
	s_waitcnt vmcnt(0)
	v_mul_f32_e32 v19, v30, v111
	v_fma_f32 v16, v28, v106, -v0
	v_mul_f32_e32 v0, v31, v111
	v_fmac_f32_e32 v17, v29, v106
	v_fmac_f32_e32 v19, v31, v110
	v_fma_f32 v18, v30, v110, -v0
	v_mov_b32_e32 v0, 0x47af
	ds_read2_b64 v[28:31], v140 offset0:86 offset1:211
	v_mul_u32_u24_sdwa v1, v42, v0 dst_sel:DWORD dst_unused:UNUSED_PAD src0_sel:WORD_0 src1_sel:DWORD
	v_lshrrev_b32_e32 v1, 16, v1
	v_sub_nc_u16 v2, v42, v1
	v_lshrrev_b16 v2, 1, v2
	s_waitcnt lgkmcnt(0)
	v_mul_f32_e32 v67, v30, v105
	v_add_nc_u16 v4, v2, v1
	v_mul_u32_u24_sdwa v1, v162, v0 dst_sel:DWORD dst_unused:UNUSED_PAD src0_sel:WORD_0 src1_sel:DWORD
	v_mul_u32_u24_sdwa v0, v163, v0 dst_sel:DWORD dst_unused:UNUSED_PAD src0_sel:WORD_0 src1_sel:DWORD
	v_fmac_f32_e32 v67, v31, v104
	v_lshrrev_b16 v68, 4, v4
	v_lshrrev_b32_e32 v1, 16, v1
	v_lshrrev_b32_e32 v0, 16, v0
	v_sub_f32_e32 v3, v17, v67
	v_sub_f32_e32 v124, v13, v67
	v_mul_lo_u16 v4, v68, 25
	v_sub_nc_u16 v2, v162, v1
	v_sub_nc_u16 v71, v42, v4
	v_lshrrev_b16 v2, 1, v2
	v_add_nc_u16 v5, v2, v1
	v_sub_nc_u16 v1, v163, v0
	v_lshrrev_b16 v69, 4, v5
	v_lshrrev_b16 v1, 1, v1
	v_mul_lo_u16 v4, v69, 25
	v_add_nc_u16 v6, v1, v0
	v_mul_u32_u24_sdwa v0, v22, v63 dst_sel:DWORD dst_unused:UNUSED_PAD src0_sel:WORD_0 src1_sel:DWORD
	v_sub_nc_u16 v72, v162, v4
	v_lshrrev_b16 v70, 4, v6
	v_add_lshl_u32 v142, v0, v23, 3
	ds_read2_b64 v[22:25], v255 offset0:116 offset1:241
	v_lshlrev_b16 v5, 5, v72
	v_mul_lo_u16 v4, v70, 25
	v_and_b32_e32 v6, 0xffff, v5
	v_sub_nc_u16 v73, v163, v4
	v_lshlrev_b16 v4, 5, v71
	v_lshlrev_b16 v5, 5, v73
	v_and_b32_e32 v4, 0xffff, v4
	v_and_b32_e32 v10, 0xffff, v5
	v_add_co_u32 v4, s6, s10, v4
	s_waitcnt lgkmcnt(0)
	v_mul_f32_e32 v0, v25, v213
	v_add_co_ci_u32_e64 v5, null, s11, 0, s6
	v_add_co_u32 v6, s6, s10, v6
	v_fma_f32 v64, v24, v212, -v0
	v_mul_f32_e32 v0, v31, v105
	v_add_co_ci_u32_e64 v7, null, s11, 0, s6
	v_add_co_u32 v10, s6, s10, v10
	v_fma_f32 v65, v30, v104, -v0
	ds_read2_b64 v[30:33], v237 offset1:125
	s_clause 0x3
	global_load_dwordx4 v[112:115], v[4:5], off offset:160
	global_load_dwordx4 v[128:131], v[4:5], off offset:176
	;; [unrolled: 1-line block ×4, first 2 shown]
	v_add_co_ci_u32_e64 v11, null, s11, 0, s6
	ds_read_b64 v[4:5], v237 offset:24000
	s_clause 0x1
	global_load_dwordx4 v[136:139], v[10:11], off offset:176
	global_load_dwordx4 v[120:123], v[10:11], off offset:160
	v_mul_f32_e32 v24, v24, v213
	v_sub_f32_e32 v0, v64, v12
	v_sub_f32_e32 v1, v16, v65
	;; [unrolled: 1-line block ×4, first 2 shown]
	v_fmac_f32_e32 v24, v25, v212
	ds_read2_b64 v[34:37], v254 offset0:110 offset1:235
	ds_read2_b64 v[38:41], v233 offset0:80 offset1:205
	;; [unrolled: 1-line block ×7, first 2 shown]
	v_add_f32_e32 v66, v0, v1
	v_add_f32_e32 v0, v12, v65
	;; [unrolled: 1-line block ×3, first 2 shown]
	v_sub_f32_e32 v2, v24, v13
	v_sub_f32_e32 v74, v24, v17
	s_waitcnt vmcnt(0) lgkmcnt(0)
	v_fma_f32 v0, -0.5, v0, v30
	v_fma_f32 v1, -0.5, v1, v31
	v_add_f32_e32 v25, v2, v3
	v_add_f32_e32 v2, v30, v64
	;; [unrolled: 1-line block ×3, first 2 shown]
	v_fmamk_f32 v8, v74, 0x3f737871, v0
	v_fmamk_f32 v9, v75, 0xbf737871, v1
	s_barrier
	v_add_f32_e32 v2, v2, v12
	v_add_f32_e32 v3, v3, v13
	v_fmac_f32_e32 v8, 0x3f167918, v124
	v_fmac_f32_e32 v9, 0xbf167918, v125
	buffer_gl0_inv
	v_add_f32_e32 v2, v2, v65
	v_add_f32_e32 v3, v3, v67
	v_fmac_f32_e32 v8, 0x3e9e377a, v66
	v_fmac_f32_e32 v9, 0x3e9e377a, v25
	v_add_f32_e32 v6, v64, v16
	v_add_f32_e32 v2, v2, v16
	;; [unrolled: 1-line block ×3, first 2 shown]
	v_sub_f32_e32 v7, v13, v24
	v_fmac_f32_e32 v0, 0xbf737871, v74
	v_fmac_f32_e32 v1, 0x3f737871, v75
	buffer_store_dword v142, off, s[20:23], 0 offset:264 ; 4-byte Folded Spill
	ds_write2_b64 v142, v[2:3], v[8:9] offset1:25
	v_sub_f32_e32 v2, v12, v64
	v_sub_f32_e32 v3, v65, v16
	v_add_f32_e32 v8, v24, v17
	v_sub_f32_e32 v9, v67, v17
	v_fmac_f32_e32 v0, 0xbf167918, v124
	v_fmac_f32_e32 v1, 0x3f167918, v125
	v_add_f32_e32 v10, v2, v3
	v_fma_f32 v2, -0.5, v6, v30
	v_fma_f32 v3, -0.5, v8, v31
	v_add_f32_e32 v8, v7, v9
	v_fmac_f32_e32 v0, 0x3e9e377a, v66
	v_fmac_f32_e32 v1, 0x3e9e377a, v25
	v_fmamk_f32 v6, v124, 0xbf737871, v2
	v_fmac_f32_e32 v2, 0x3f737871, v124
	v_fmamk_f32 v7, v125, 0x3f737871, v3
	v_fmac_f32_e32 v3, 0xbf737871, v125
	ds_write_b64 v142, v[0:1] offset:800
	v_fmac_f32_e32 v6, 0x3f167918, v74
	v_fmac_f32_e32 v2, 0xbf167918, v74
	;; [unrolled: 1-line block ×4, first 2 shown]
	v_mul_f32_e32 v0, v39, v109
	v_fmac_f32_e32 v6, 0x3e9e377a, v10
	v_fmac_f32_e32 v2, 0x3e9e377a, v10
	;; [unrolled: 1-line block ×4, first 2 shown]
	v_mul_f32_e32 v9, v38, v109
	v_mul_f32_e32 v10, v34, v101
	v_mul_u32_u24_sdwa v17, v21, v63 dst_sel:DWORD dst_unused:UNUSED_PAD src0_sel:WORD_0 src1_sel:DWORD
	ds_write2_b64 v142, v[6:7], v[2:3] offset0:50 offset1:75
	v_fma_f32 v6, v38, v108, -v0
	v_mul_f32_e32 v0, v35, v101
	v_fmac_f32_e32 v9, v39, v108
	v_fmac_f32_e32 v10, v35, v100
	v_add_lshl_u32 v38, v17, v20, 3
	v_sub_f32_e32 v2, v6, v18
	v_fma_f32 v7, v34, v100, -v0
	v_add_f32_e32 v0, v14, v6
	v_sub_f32_e32 v11, v15, v9
	v_sub_f32_e32 v12, v10, v19
	v_add_f32_e32 v3, v10, v19
	v_add_f32_e32 v1, v7, v18
	v_add_f32_e32 v8, v32, v7
	v_fma_f32 v0, -0.5, v0, v32
	v_add_f32_e32 v13, v33, v10
	v_sub_f32_e32 v16, v9, v19
	v_fma_f32 v32, -0.5, v1, v32
	v_sub_f32_e32 v1, v14, v7
	v_sub_f32_e32 v21, v14, v6
	;; [unrolled: 1-line block ×4, first 2 shown]
	buffer_store_dword v38, off, s[20:23], 0 offset:272 ; 4-byte Folded Spill
	v_add_f32_e32 v1, v1, v2
	v_fmamk_f32 v2, v11, 0xbf737871, v32
	v_fmac_f32_e32 v32, 0x3f737871, v11
	v_fmac_f32_e32 v2, 0x3f167918, v12
	v_fmac_f32_e32 v32, 0xbf167918, v12
	v_fmac_f32_e32 v2, 0x3e9e377a, v1
	v_fmac_f32_e32 v32, 0x3e9e377a, v1
	v_add_f32_e32 v1, v15, v9
	v_fma_f32 v1, -0.5, v1, v33
	v_fmac_f32_e32 v33, -0.5, v3
	v_sub_f32_e32 v3, v15, v10
	v_add_f32_e32 v16, v3, v16
	v_fmamk_f32 v3, v21, 0x3f737871, v33
	v_fmac_f32_e32 v33, 0xbf737871, v21
	v_fmac_f32_e32 v3, 0xbf167918, v24
	;; [unrolled: 1-line block ×5, first 2 shown]
	ds_write2_b64 v38, v[2:3], v[32:33] offset0:50 offset1:75
	v_add_f32_e32 v3, v13, v15
	v_add_f32_e32 v3, v3, v9
	v_sub_f32_e32 v9, v19, v9
	v_add_f32_e32 v3, v3, v19
	v_mul_f32_e32 v2, v37, v113
	v_mul_f32_e32 v17, v36, v113
	;; [unrolled: 1-line block ×5, first 2 shown]
	v_fma_f32 v16, v36, v112, -v2
	v_mul_f32_e32 v2, v41, v129
	v_fmac_f32_e32 v25, v41, v128
	v_fmac_f32_e32 v31, v48, v114
	;; [unrolled: 1-line block ×4, first 2 shown]
	v_fma_f32 v20, v40, v128, -v2
	v_mul_f32_e32 v2, v48, v115
	v_mul_f32_e32 v33, v49, v119
	;; [unrolled: 1-line block ×4, first 2 shown]
	v_fma_f32 v30, v47, v114, -v2
	v_mul_f32_e32 v2, v50, v119
	v_fmac_f32_e32 v33, v50, v118
	v_fmac_f32_e32 v37, v54, v134
	;; [unrolled: 1-line block ×3, first 2 shown]
	v_fma_f32 v32, v49, v118, -v2
	v_mul_f32_e32 v2, v52, v131
	v_fma_f32 v34, v51, v130, -v2
	v_mul_f32_e32 v2, v54, v135
	v_sub_f32_e32 v13, v16, v34
	v_fma_f32 v36, v53, v134, -v2
	v_add_f32_e32 v2, v8, v14
	v_sub_f32_e32 v8, v10, v15
	v_sub_f32_e32 v14, v30, v20
	;; [unrolled: 1-line block ×3, first 2 shown]
	v_add_f32_e32 v2, v2, v6
	v_sub_f32_e32 v6, v18, v6
	v_add_f32_e32 v8, v8, v9
	v_add_f32_e32 v2, v2, v18
	;; [unrolled: 1-line block ×3, first 2 shown]
	v_fmamk_f32 v6, v12, 0x3f737871, v0
	v_fmamk_f32 v7, v24, 0xbf737871, v1
	v_fmac_f32_e32 v0, 0xbf737871, v12
	v_fmac_f32_e32 v1, 0x3f737871, v24
	v_sub_f32_e32 v12, v31, v25
	v_fmac_f32_e32 v6, 0x3f167918, v11
	v_fmac_f32_e32 v7, 0xbf167918, v21
	;; [unrolled: 1-line block ×4, first 2 shown]
	v_sub_f32_e32 v11, v17, v35
	v_fmac_f32_e32 v6, 0x3e9e377a, v10
	v_fmac_f32_e32 v7, 0x3e9e377a, v8
	;; [unrolled: 1-line block ×4, first 2 shown]
	v_mad_u16 v10, 0x7d, v68, v71
	v_mul_f32_e32 v21, v61, v137
	ds_write2_b64 v38, v[2:3], v[6:7] offset1:25
	v_add_f32_e32 v2, v30, v20
	ds_write_b64 v38, v[0:1] offset:800
	v_sub_f32_e32 v0, v16, v30
	v_sub_f32_e32 v1, v34, v20
	v_add_f32_e32 v3, v31, v25
	v_fma_f32 v2, -0.5, v2, v43
	v_sub_f32_e32 v6, v17, v31
	v_sub_f32_e32 v7, v35, v25
	v_add_f32_e32 v8, v0, v1
	v_add_f32_e32 v0, v43, v16
	;; [unrolled: 1-line block ×3, first 2 shown]
	v_fma_f32 v3, -0.5, v3, v44
	v_add_f32_e32 v9, v6, v7
	v_fmamk_f32 v6, v11, 0x3f737871, v2
	v_add_f32_e32 v0, v0, v30
	v_add_f32_e32 v1, v1, v31
	v_fmamk_f32 v7, v13, 0xbf737871, v3
	v_lshlrev_b32_sdwa v18, v27, v10 dst_sel:DWORD dst_unused:UNUSED_PAD src0_sel:DWORD src1_sel:WORD_0
	v_fmac_f32_e32 v6, 0x3f167918, v12
	v_add_f32_e32 v0, v0, v20
	v_add_f32_e32 v1, v1, v25
	v_fmac_f32_e32 v7, 0xbf167918, v14
	v_sub_f32_e32 v10, v31, v17
	v_fmac_f32_e32 v6, 0x3e9e377a, v8
	v_add_f32_e32 v0, v0, v34
	v_add_f32_e32 v1, v1, v35
	v_fmac_f32_e32 v7, 0x3e9e377a, v9
	v_add_f32_e32 v10, v10, v15
	v_fmac_f32_e32 v3, 0x3f737871, v13
	v_fmac_f32_e32 v2, 0xbf737871, v11
	v_mad_u16 v15, 0x7d, v69, v72
	ds_write2_b64 v18, v[0:1], v[6:7] offset1:25
	v_sub_f32_e32 v0, v30, v16
	v_sub_f32_e32 v1, v20, v34
	v_add_f32_e32 v6, v16, v34
	v_fmac_f32_e32 v3, 0x3f167918, v14
	v_fmac_f32_e32 v2, 0xbf167918, v12
	buffer_store_dword v18, off, s[20:23], 0 offset:248 ; 4-byte Folded Spill
	v_add_f32_e32 v7, v0, v1
	v_fma_f32 v0, -0.5, v6, v43
	v_add_f32_e32 v1, v17, v35
	v_fmac_f32_e32 v3, 0x3e9e377a, v9
	v_mul_f32_e32 v9, v59, v133
	v_fmac_f32_e32 v2, 0x3e9e377a, v8
	v_fmamk_f32 v6, v12, 0xbf737871, v0
	v_fmac_f32_e32 v0, 0x3f737871, v12
	v_fma_f32 v1, -0.5, v1, v44
	v_fmac_f32_e32 v9, v60, v132
	ds_write_b64 v18, v[2:3] offset:800
	v_fmac_f32_e32 v6, 0x3f167918, v11
	v_fmac_f32_e32 v0, 0xbf167918, v11
	;; [unrolled: 1-line block ×3, first 2 shown]
	v_sub_f32_e32 v11, v33, v9
	v_lshlrev_b32_e32 v43, 5, v126
	v_fmac_f32_e32 v6, 0x3e9e377a, v7
	v_fmac_f32_e32 v0, 0x3e9e377a, v7
	v_fmamk_f32 v7, v14, 0x3f737871, v1
	v_fmac_f32_e32 v1, 0xbf737871, v14
	v_sub_f32_e32 v14, v9, v37
	v_fmac_f32_e32 v7, 0xbf167918, v13
	v_fmac_f32_e32 v1, 0x3f167918, v13
	;; [unrolled: 1-line block ×4, first 2 shown]
	v_mul_f32_e32 v10, v55, v117
	ds_write2_b64 v18, v[6:7], v[0:1] offset0:50 offset1:75
	v_mul_f32_e32 v0, v60, v133
	v_fmac_f32_e32 v10, v56, v116
	v_fma_f32 v6, v59, v132, -v0
	v_mul_f32_e32 v0, v56, v117
	v_sub_f32_e32 v12, v10, v37
	v_add_f32_e32 v3, v10, v37
	v_add_f32_e32 v13, v46, v10
	v_sub_f32_e32 v2, v6, v36
	v_fma_f32 v7, v55, v116, -v0
	v_add_f32_e32 v0, v32, v6
	v_sub_f32_e32 v16, v32, v6
	v_add_f32_e32 v1, v7, v36
	v_add_f32_e32 v8, v45, v7
	v_fma_f32 v0, -0.5, v0, v45
	v_sub_f32_e32 v17, v7, v36
	v_fma_f32 v45, -0.5, v1, v45
	v_sub_f32_e32 v1, v32, v7
	v_sub_f32_e32 v7, v7, v32
	v_add_f32_e32 v1, v1, v2
	v_fmamk_f32 v2, v11, 0xbf737871, v45
	v_fmac_f32_e32 v45, 0x3f737871, v11
	v_fmac_f32_e32 v2, 0x3f167918, v12
	;; [unrolled: 1-line block ×5, first 2 shown]
	v_add_f32_e32 v1, v33, v9
	v_fma_f32 v1, -0.5, v1, v46
	v_fmac_f32_e32 v46, -0.5, v3
	v_sub_f32_e32 v3, v33, v10
	v_add_f32_e32 v14, v3, v14
	v_fmamk_f32 v3, v16, 0x3f737871, v46
	v_fmac_f32_e32 v46, 0xbf737871, v16
	v_fmac_f32_e32 v3, 0xbf167918, v17
	;; [unrolled: 1-line block ×5, first 2 shown]
	v_lshlrev_b32_sdwa v14, v27, v15 dst_sel:DWORD dst_unused:UNUSED_PAD src0_sel:DWORD src1_sel:WORD_0
	v_mul_f32_e32 v15, v57, v121
	ds_write2_b64 v14, v[2:3], v[45:46] offset0:50 offset1:75
	v_mul_f32_e32 v2, v58, v121
	v_mov_b32_e32 v24, v14
	v_add_f32_e32 v3, v13, v33
	v_fmac_f32_e32 v15, v58, v120
	v_fma_f32 v14, v57, v120, -v2
	v_mul_f32_e32 v2, v29, v123
	v_add_f32_e32 v3, v3, v9
	v_sub_f32_e32 v9, v37, v9
	buffer_store_dword v24, off, s[20:23], 0 offset:260 ; 4-byte Folded Spill
	v_mov_b32_e32 v29, v141
	v_fma_f32 v18, v28, v122, -v2
	v_mul_f32_e32 v2, v62, v137
	v_add_f32_e32 v3, v3, v37
	v_mov_b32_e32 v28, v140
	v_fma_f32 v20, v61, v136, -v2
	v_add_f32_e32 v2, v8, v32
	v_sub_f32_e32 v8, v10, v33
	v_add_f32_e32 v2, v2, v6
	v_sub_f32_e32 v6, v36, v6
	v_add_f32_e32 v8, v8, v9
	v_add_f32_e32 v9, v23, v15
	;; [unrolled: 1-line block ×4, first 2 shown]
	v_fmamk_f32 v6, v12, 0x3f737871, v0
	v_fmamk_f32 v7, v17, 0xbf737871, v1
	v_fmac_f32_e32 v0, 0xbf737871, v12
	v_fmac_f32_e32 v1, 0x3f737871, v17
	v_sub_f32_e32 v12, v18, v20
	v_fmac_f32_e32 v6, 0x3f167918, v11
	v_fmac_f32_e32 v7, 0xbf167918, v16
	v_fmac_f32_e32 v0, 0xbf167918, v11
	v_fmac_f32_e32 v1, 0x3f167918, v16
	v_mad_u16 v11, 0x7d, v70, v73
	v_fmac_f32_e32 v6, 0x3e9e377a, v10
	v_fmac_f32_e32 v7, 0x3e9e377a, v8
	;; [unrolled: 1-line block ×4, first 2 shown]
	ds_write2_b64 v24, v[2:3], v[6:7] offset1:25
	v_mul_f32_e32 v2, v5, v139
	ds_write_b64 v24, v[0:1] offset:800
	v_add_f32_e32 v0, v18, v20
	v_sub_f32_e32 v7, v19, v21
	v_fma_f32 v6, v4, v138, -v2
	v_mul_f32_e32 v4, v4, v139
	v_fma_f32 v0, -0.5, v0, v22
	v_add_f32_e32 v1, v14, v6
	v_fmac_f32_e32 v4, v5, v138
	v_add_f32_e32 v5, v22, v14
	v_sub_f32_e32 v2, v20, v6
	v_sub_f32_e32 v13, v14, v6
	v_fma_f32 v22, -0.5, v1, v22
	v_sub_f32_e32 v1, v18, v14
	v_sub_f32_e32 v8, v15, v4
	v_add_f32_e32 v3, v15, v4
	v_sub_f32_e32 v10, v21, v4
	v_add_f32_e32 v1, v1, v2
	v_fmamk_f32 v2, v7, 0xbf737871, v22
	v_fmac_f32_e32 v22, 0x3f737871, v7
	v_fmac_f32_e32 v2, 0x3f167918, v8
	;; [unrolled: 1-line block ×5, first 2 shown]
	v_add_f32_e32 v1, v19, v21
	v_fma_f32 v1, -0.5, v1, v23
	v_fmac_f32_e32 v23, -0.5, v3
	v_sub_f32_e32 v3, v19, v15
	v_add_f32_e32 v10, v3, v10
	v_fmamk_f32 v3, v12, 0x3f737871, v23
	v_fmac_f32_e32 v23, 0xbf737871, v12
	v_fmac_f32_e32 v3, 0xbf167918, v13
	v_fmac_f32_e32 v23, 0x3f167918, v13
	v_fmac_f32_e32 v3, 0x3e9e377a, v10
	v_fmac_f32_e32 v23, 0x3e9e377a, v10
	v_lshlrev_b32_sdwa v10, v27, v11 dst_sel:DWORD dst_unused:UNUSED_PAD src0_sel:DWORD src1_sel:WORD_0
	ds_write2_b64 v10, v[2:3], v[22:23] offset0:50 offset1:75
	v_add_f32_e32 v2, v5, v18
	v_add_f32_e32 v3, v9, v19
	v_mov_b32_e32 v11, v10
	v_sub_f32_e32 v10, v14, v18
	v_sub_f32_e32 v5, v6, v20
	v_add_f32_e32 v2, v2, v20
	v_add_f32_e32 v3, v3, v21
	buffer_store_dword v11, off, s[20:23], 0 offset:268 ; 4-byte Folded Spill
	v_add_f32_e32 v9, v10, v5
	v_add_f32_e32 v2, v2, v6
	;; [unrolled: 1-line block ×3, first 2 shown]
	v_sub_f32_e32 v6, v15, v19
	v_sub_f32_e32 v4, v4, v21
	v_fmamk_f32 v5, v13, 0xbf737871, v1
	v_fmac_f32_e32 v1, 0x3f737871, v13
	v_add_f32_e32 v6, v6, v4
	v_fmamk_f32 v4, v8, 0x3f737871, v0
	v_fmac_f32_e32 v0, 0xbf737871, v8
	v_fmac_f32_e32 v5, 0xbf167918, v12
	;; [unrolled: 1-line block ×9, first 2 shown]
	ds_write2_b64 v11, v[2:3], v[4:5] offset1:25
	ds_write_b64 v11, v[0:1] offset:800
	s_waitcnt lgkmcnt(0)
	s_waitcnt_vscnt null, 0x0
	s_barrier
	buffer_gl0_inv
	s_clause 0x1
	global_load_dwordx4 v[70:73], v43, s[10:11] offset:960
	global_load_dwordx4 v[44:47], v43, s[10:11] offset:976
	ds_read2_b64 v[20:23], v239 offset0:98 offset1:223
	ds_read2_b64 v[32:35], v140 offset0:86 offset1:211
	ds_read2_b64 v[148:151], v237 offset1:125
	s_waitcnt vmcnt(1) lgkmcnt(2)
	v_mul_f32_e32 v0, v21, v73
	v_mul_f32_e32 v158, v20, v73
	;; [unrolled: 1-line block ×3, first 2 shown]
	s_waitcnt vmcnt(0) lgkmcnt(1)
	v_mul_f32_e32 v16, v34, v45
	v_fma_f32 v159, v20, v72, -v0
	v_mul_f32_e32 v0, v23, v73
	v_fmac_f32_e32 v158, v21, v72
	v_fmac_f32_e32 v154, v23, v72
	;; [unrolled: 1-line block ×3, first 2 shown]
	v_fma_f32 v153, v22, v72, -v0
	ds_read2_b64 v[20:23], v141 offset0:68 offset1:193
	v_add_f32_e32 v3, v158, v16
	v_sub_f32_e32 v19, v158, v16
	s_waitcnt lgkmcnt(1)
	v_fma_f32 v3, -0.5, v3, v149
	s_waitcnt lgkmcnt(0)
	v_mul_f32_e32 v0, v21, v47
	v_mul_f32_e32 v164, v20, v47
	;; [unrolled: 1-line block ×3, first 2 shown]
	v_fma_f32 v165, v20, v46, -v0
	v_mul_f32_e32 v0, v23, v47
	v_fmac_f32_e32 v164, v21, v46
	v_fmac_f32_e32 v157, v23, v46
	v_fma_f32 v156, v22, v46, -v0
	v_mov_b32_e32 v0, 0x625
	ds_read2_b64 v[20:23], v255 offset0:116 offset1:241
	v_sub_f32_e32 v8, v164, v16
	v_mul_u32_u24_sdwa v1, v42, v0 dst_sel:DWORD dst_unused:UNUSED_PAD src0_sel:WORD_0 src1_sel:DWORD
	v_lshrrev_b32_e32 v1, 16, v1
	v_sub_nc_u16 v2, v42, v1
	v_lshrrev_b16 v2, 1, v2
	s_waitcnt lgkmcnt(0)
	v_mul_f32_e32 v15, v22, v71
	v_add_nc_u16 v4, v2, v1
	v_mul_u32_u24_sdwa v1, v162, v0 dst_sel:DWORD dst_unused:UNUSED_PAD src0_sel:WORD_0 src1_sel:DWORD
	v_mul_u32_u24_sdwa v0, v163, v0 dst_sel:DWORD dst_unused:UNUSED_PAD src0_sel:WORD_0 src1_sel:DWORD
	v_fmac_f32_e32 v15, v23, v70
	v_lshrrev_b16 v4, 6, v4
	v_lshrrev_b32_e32 v1, 16, v1
	v_lshrrev_b32_e32 v0, 16, v0
	v_sub_f32_e32 v7, v15, v158
	v_sub_f32_e32 v18, v15, v164
	v_mul_lo_u16 v4, 0x7d, v4
	v_sub_nc_u16 v2, v162, v1
	v_add_f32_e32 v17, v7, v8
	v_sub_nc_u16 v152, v42, v4
	v_lshrrev_b16 v2, 1, v2
	v_lshlrev_b32_sdwa v68, v27, v152 dst_sel:DWORD dst_unused:UNUSED_PAD src0_sel:DWORD src1_sel:WORD_0
	v_add_nc_u16 v5, v2, v1
	v_sub_nc_u16 v1, v163, v0
	v_add_nc_u32_e32 v69, 0x2400, v68
	v_lshrrev_b16 v4, 6, v5
	v_lshrrev_b16 v1, 1, v1
	v_mul_lo_u16 v7, 0x7d, v4
	v_add_nc_u16 v6, v1, v0
	v_mul_f32_e32 v0, v23, v71
	v_sub_nc_u16 v155, v162, v7
	v_lshrrev_b16 v6, 6, v6
	v_fma_f32 v12, v22, v70, -v0
	v_mul_f32_e32 v0, v35, v45
	v_lshlrev_b16 v7, 5, v155
	v_mul_lo_u16 v5, 0x7d, v6
	v_lshlrev_b16 v6, 5, v152
	v_fma_f32 v13, v34, v44, -v0
	v_sub_f32_e32 v0, v12, v159
	v_and_b32_e32 v10, 0xffff, v7
	v_sub_nc_u16 v166, v163, v5
	v_and_b32_e32 v6, 0xffff, v6
	v_sub_f32_e32 v1, v165, v13
	v_add_f32_e32 v2, v159, v13
	v_sub_f32_e32 v167, v12, v165
	v_sub_f32_e32 v168, v159, v13
	v_add_co_u32 v4, s6, s10, v6
	v_lshlrev_b16 v6, 5, v166
	v_add_co_ci_u32_e64 v5, null, s11, 0, s6
	v_add_f32_e32 v14, v0, v1
	v_add_f32_e32 v0, v148, v12
	v_and_b32_e32 v6, 0xffff, v6
	v_add_f32_e32 v1, v149, v15
	v_fma_f32 v2, -0.5, v2, v148
	v_fmamk_f32 v9, v167, 0xbf737871, v3
	v_add_f32_e32 v0, v0, v159
	v_add_co_u32 v6, s6, s10, v6
	v_add_co_ci_u32_e64 v7, null, s11, 0, s6
	s_clause 0x1
	global_load_dwordx4 v[60:63], v[6:7], off offset:960
	global_load_dwordx4 v[242:245], v[6:7], off offset:976
	v_add_co_u32 v10, s6, s10, v10
	v_add_co_ci_u32_e64 v11, null, s11, 0, s6
	ds_read_b64 v[6:7], v237 offset:24000
	s_clause 0x3
	global_load_dwordx4 v[64:67], v[4:5], off offset:976
	global_load_dwordx4 v[184:187], v[4:5], off offset:960
	;; [unrolled: 1-line block ×4, first 2 shown]
	v_add_f32_e32 v1, v1, v158
	v_fmamk_f32 v8, v18, 0x3f737871, v2
	v_add_f32_e32 v0, v0, v13
	v_fmac_f32_e32 v9, 0xbf167918, v168
	ds_read2_b64 v[144:147], v254 offset0:110 offset1:235
	ds_read2_b64 v[140:143], v233 offset0:80 offset1:205
	;; [unrolled: 1-line block ×7, first 2 shown]
	v_add_f32_e32 v1, v1, v16
	v_fmac_f32_e32 v8, 0x3f167918, v19
	v_add_f32_e32 v0, v0, v165
	v_fmac_f32_e32 v9, 0x3e9e377a, v17
	s_waitcnt vmcnt(0) lgkmcnt(0)
	v_add_f32_e32 v1, v1, v164
	v_fmac_f32_e32 v8, 0x3e9e377a, v14
	s_barrier
	buffer_gl0_inv
	v_add_f32_e32 v4, v12, v165
	v_fmac_f32_e32 v2, 0xbf737871, v18
	ds_write2_b64 v237, v[0:1], v[8:9] offset1:125
	v_sub_f32_e32 v0, v159, v12
	v_sub_f32_e32 v1, v13, v165
	v_sub_f32_e32 v8, v158, v15
	v_sub_f32_e32 v9, v16, v164
	v_fmac_f32_e32 v3, 0x3f737871, v167
	v_fmac_f32_e32 v2, 0xbf167918, v19
	v_add_f32_e32 v5, v0, v1
	v_fma_f32 v0, -0.5, v4, v148
	v_add_f32_e32 v1, v15, v164
	v_add_f32_e32 v8, v8, v9
	v_mul_f32_e32 v9, v140, v45
	v_fmac_f32_e32 v3, 0x3f167918, v168
	v_fmamk_f32 v4, v19, 0xbf737871, v0
	v_fmac_f32_e32 v0, 0x3f737871, v19
	v_fma_f32 v1, -0.5, v1, v149
	v_fmac_f32_e32 v9, v141, v44
	v_fmac_f32_e32 v2, 0x3e9e377a, v14
	v_fmac_f32_e32 v4, 0x3f167918, v18
	v_fmac_f32_e32 v0, 0xbf167918, v18
	v_fmac_f32_e32 v3, 0x3e9e377a, v17
	v_sub_f32_e32 v12, v154, v9
	v_sub_f32_e32 v14, v157, v9
	v_fmac_f32_e32 v4, 0x3e9e377a, v5
	v_fmac_f32_e32 v0, 0x3e9e377a, v5
	v_fmamk_f32 v5, v168, 0x3f737871, v1
	v_fmac_f32_e32 v1, 0xbf737871, v168
	buffer_store_dword v69, off, s[20:23], 0 offset:204 ; 4-byte Folded Spill
	v_fmac_f32_e32 v5, 0xbf167918, v167
	v_fmac_f32_e32 v1, 0x3f167918, v167
	;; [unrolled: 1-line block ×4, first 2 shown]
	ds_write2_b64 v241, v[4:5], v[0:1] offset0:122 offset1:247
	v_mul_f32_e32 v0, v145, v71
	v_mul_f32_e32 v5, v144, v71
	v_fma_f32 v4, v144, v70, -v0
	v_fmac_f32_e32 v5, v145, v70
	v_mul_f32_e32 v0, v141, v45
	v_sub_f32_e32 v15, v4, v156
	v_add_f32_e32 v1, v151, v5
	v_fma_f32 v8, v140, v44, -v0
	v_add_f32_e32 v0, v150, v4
	v_sub_f32_e32 v13, v5, v157
	v_add_f32_e32 v1, v1, v154
	v_add_f32_e32 v0, v0, v153
	;; [unrolled: 1-line block ×6, first 2 shown]
	ds_write2_b64 v255, v[2:3], v[0:1] offset0:116 offset1:241
	v_sub_f32_e32 v0, v4, v153
	v_sub_f32_e32 v1, v156, v8
	;; [unrolled: 1-line block ×4, first 2 shown]
	v_add_f32_e32 v10, v0, v1
	v_add_f32_e32 v0, v153, v8
	;; [unrolled: 1-line block ×3, first 2 shown]
	v_sub_f32_e32 v8, v153, v8
	v_fma_f32 v0, -0.5, v0, v150
	v_fma_f32 v150, -0.5, v1, v150
	v_sub_f32_e32 v1, v153, v4
	v_fmamk_f32 v4, v12, 0xbf737871, v150
	v_add_f32_e32 v11, v1, v2
	v_add_f32_e32 v1, v154, v9
	v_sub_f32_e32 v2, v5, v154
	v_add_f32_e32 v5, v5, v157
	v_sub_f32_e32 v9, v9, v157
	v_fmac_f32_e32 v150, 0x3f737871, v12
	v_fma_f32 v1, -0.5, v1, v151
	v_add_f32_e32 v14, v2, v14
	v_fmac_f32_e32 v151, -0.5, v5
	v_add_f32_e32 v9, v3, v9
	v_fmamk_f32 v2, v13, 0x3f737871, v0
	v_fmac_f32_e32 v0, 0xbf737871, v13
	v_fmamk_f32 v3, v15, 0xbf737871, v1
	v_fmac_f32_e32 v1, 0x3f737871, v15
	v_fmamk_f32 v5, v8, 0x3f737871, v151
	v_fmac_f32_e32 v151, 0xbf737871, v8
	v_fmac_f32_e32 v0, 0xbf167918, v12
	v_fmac_f32_e32 v150, 0xbf167918, v13
	;; [unrolled: 1-line block ×14, first 2 shown]
	ds_write2_b64 v240, v[150:151], v[0:1] offset0:104 offset1:229
	v_fmac_f32_e32 v4, 0x3e9e377a, v11
	v_fmac_f32_e32 v5, 0x3e9e377a, v9
	ds_write2_b64 v254, v[2:3], v[4:5] offset0:110 offset1:235
	v_mul_f32_e32 v0, v33, v63
	v_mul_f32_e32 v17, v32, v63
	v_mul_f32_e32 v19, v40, v243
	v_mul_f32_e32 v13, v6, v245
	v_mul_f32_e32 v141, v142, v65
	v_fma_f32 v16, v32, v62, -v0
	v_mul_f32_e32 v0, v7, v245
	v_fmac_f32_e32 v17, v33, v62
	v_fmac_f32_e32 v19, v41, v242
	v_mul_f32_e32 v32, v126, v61
	v_fmac_f32_e32 v13, v7, v244
	v_fma_f32 v12, v6, v244, -v0
	v_mul_f32_e32 v0, v41, v243
	v_sub_f32_e32 v33, v17, v19
	v_fmac_f32_e32 v32, v127, v60
	v_sub_f32_e32 v4, v19, v13
	v_fmac_f32_e32 v141, v143, v64
	v_fma_f32 v14, v40, v242, -v0
	v_mul_f32_e32 v0, v127, v61
	v_sub_f32_e32 v40, v32, v13
	v_add_f32_e32 v3, v32, v13
	v_add_f32_e32 v41, v21, v32
	v_sub_f32_e32 v2, v14, v12
	v_fma_f32 v15, v126, v60, -v0
	v_add_f32_e32 v0, v16, v14
	v_sub_f32_e32 v126, v16, v14
	v_add_f32_e32 v1, v15, v12
	v_add_f32_e32 v18, v20, v15
	v_fma_f32 v0, -0.5, v0, v20
	v_sub_f32_e32 v127, v15, v12
	v_fma_f32 v20, -0.5, v1, v20
	v_sub_f32_e32 v1, v16, v15
	v_add_f32_e32 v1, v1, v2
	v_fmamk_f32 v2, v33, 0xbf737871, v20
	v_fmac_f32_e32 v20, 0x3f737871, v33
	v_fmac_f32_e32 v2, 0x3f167918, v40
	;; [unrolled: 1-line block ×5, first 2 shown]
	v_add_f32_e32 v1, v17, v19
	v_fma_f32 v1, -0.5, v1, v21
	v_fmac_f32_e32 v21, -0.5, v3
	v_sub_f32_e32 v3, v17, v32
	v_add_f32_e32 v4, v3, v4
	v_fmamk_f32 v3, v126, 0x3f737871, v21
	v_fmac_f32_e32 v21, 0xbf737871, v126
	v_fmac_f32_e32 v3, 0xbf167918, v127
	v_fmac_f32_e32 v21, 0x3f167918, v127
	v_fmac_f32_e32 v3, 0x3e9e377a, v4
	v_fmac_f32_e32 v21, 0x3e9e377a, v4
	v_lshlrev_b32_sdwa v4, v27, v166 dst_sel:DWORD dst_unused:UNUSED_PAD src0_sel:DWORD src1_sel:WORD_0
	v_add_nc_u32_e32 v5, 0x5400, v4
	v_mov_b32_e32 v30, v4
	ds_write2_b64 v5, v[2:3], v[20:21] offset0:62 offset1:187
	v_mul_f32_e32 v2, v147, v185
	buffer_store_dword v5, off, s[20:23], 0 offset:196 ; 4-byte Folded Spill
	v_mul_f32_e32 v21, v146, v185
	v_fma_f32 v20, v146, v184, -v2
	v_mul_f32_e32 v2, v143, v65
	v_fmac_f32_e32 v21, v147, v184
	v_add_f32_e32 v8, v22, v20
	v_fma_f32 v140, v142, v64, -v2
	v_mul_f32_e32 v2, v125, v57
	v_add_f32_e32 v9, v23, v21
	v_fma_f32 v142, v124, v56, -v2
	v_mul_f32_e32 v124, v124, v57
	v_mul_f32_e32 v2, v49, v187
	v_fmac_f32_e32 v124, v125, v56
	v_fma_f32 v125, v48, v186, -v2
	v_mul_f32_e32 v48, v48, v187
	v_mul_f32_e32 v2, v51, v59
	v_add_f32_e32 v145, v25, v124
	v_sub_f32_e32 v10, v20, v125
	v_fmac_f32_e32 v48, v49, v186
	v_fma_f32 v49, v50, v58, -v2
	v_mul_f32_e32 v50, v50, v59
	v_mul_f32_e32 v2, v39, v53
	v_add_f32_e32 v8, v8, v125
	v_add_f32_e32 v9, v9, v48
	v_sub_f32_e32 v148, v125, v140
	v_fmac_f32_e32 v50, v51, v58
	v_fma_f32 v51, v38, v52, -v2
	v_mul_f32_e32 v38, v38, v53
	v_mul_f32_e32 v2, v35, v67
	v_add_f32_e32 v8, v8, v140
	v_add_f32_e32 v9, v9, v141
	v_sub_f32_e32 v146, v49, v51
	v_fmac_f32_e32 v38, v39, v52
	v_fma_f32 v39, v34, v66, -v2
	v_mul_f32_e32 v34, v34, v67
	v_mul_f32_e32 v2, v37, v55
	v_sub_f32_e32 v143, v50, v38
	v_sub_f32_e32 v11, v39, v140
	v_fmac_f32_e32 v34, v35, v66
	v_fma_f32 v35, v36, v54, -v2
	v_mul_f32_e32 v36, v36, v55
	v_add_f32_e32 v2, v49, v51
	v_add_f32_e32 v8, v8, v39
	;; [unrolled: 1-line block ×4, first 2 shown]
	v_fmac_f32_e32 v36, v37, v54
	v_add_f32_e32 v37, v24, v142
	v_fma_f32 v2, -0.5, v2, v24
	v_sub_f32_e32 v4, v51, v35
	v_fma_f32 v24, -0.5, v3, v24
	v_sub_f32_e32 v3, v49, v142
	v_sub_f32_e32 v144, v124, v36
	v_add_f32_e32 v5, v124, v36
	v_sub_f32_e32 v6, v38, v36
	v_sub_f32_e32 v147, v142, v35
	v_add_f32_e32 v3, v3, v4
	v_fmamk_f32 v4, v143, 0xbf737871, v24
	v_fmac_f32_e32 v24, 0x3f737871, v143
	v_fmac_f32_e32 v4, 0x3f167918, v144
	;; [unrolled: 1-line block ×5, first 2 shown]
	v_add_f32_e32 v3, v50, v38
	v_fma_f32 v3, -0.5, v3, v25
	v_fmac_f32_e32 v25, -0.5, v5
	v_sub_f32_e32 v5, v50, v124
	v_add_f32_e32 v6, v5, v6
	v_fmamk_f32 v5, v146, 0x3f737871, v25
	v_fmac_f32_e32 v25, 0xbf737871, v146
	v_fmac_f32_e32 v5, 0xbf167918, v147
	;; [unrolled: 1-line block ×5, first 2 shown]
	v_lshlrev_b32_sdwa v6, v27, v155 dst_sel:DWORD dst_unused:UNUSED_PAD src0_sel:DWORD src1_sel:WORD_0
	v_sub_f32_e32 v27, v20, v39
	v_add_nc_u32_e32 v7, 0x4000, v6
	v_mov_b32_e32 v31, v6
	v_add_f32_e32 v6, v20, v39
	ds_write2_b64 v7, v[4:5], v[24:25] offset0:77 offset1:202
	v_add_f32_e32 v4, v125, v140
	v_add_f32_e32 v5, v48, v141
	buffer_store_dword v7, off, s[20:23], 0 offset:200 ; 4-byte Folded Spill
	v_add_f32_e32 v7, v21, v34
	v_fma_f32 v6, -0.5, v6, v22
	v_fma_f32 v4, -0.5, v4, v22
	;; [unrolled: 1-line block ×3, first 2 shown]
	v_add_f32_e32 v22, v10, v11
	v_sub_f32_e32 v10, v21, v48
	v_sub_f32_e32 v11, v34, v141
	;; [unrolled: 1-line block ×3, first 2 shown]
	v_fma_f32 v7, -0.5, v7, v23
	v_sub_f32_e32 v25, v48, v141
	v_add_f32_e32 v23, v10, v11
	v_fmamk_f32 v10, v24, 0x3f737871, v4
	v_fmamk_f32 v11, v27, 0xbf737871, v5
	v_fmac_f32_e32 v4, 0xbf737871, v24
	v_fmac_f32_e32 v5, 0x3f737871, v27
	;; [unrolled: 1-line block ×10, first 2 shown]
	ds_write2_b64 v69, v[8:9], v[10:11] offset0:98 offset1:223
	v_sub_f32_e32 v8, v125, v20
	v_sub_f32_e32 v9, v140, v39
	;; [unrolled: 1-line block ×4, first 2 shown]
	v_add_f32_e32 v9, v8, v9
	v_fmamk_f32 v8, v25, 0xbf737871, v6
	v_fmac_f32_e32 v6, 0x3f737871, v25
	v_add_f32_e32 v10, v10, v11
	v_sub_f32_e32 v11, v36, v38
	v_fmac_f32_e32 v8, 0x3f167918, v24
	v_fmac_f32_e32 v6, 0xbf167918, v24
	v_fmac_f32_e32 v8, 0x3e9e377a, v9
	v_fmac_f32_e32 v6, 0x3e9e377a, v9
	v_fmamk_f32 v9, v148, 0x3f737871, v7
	v_fmac_f32_e32 v7, 0xbf737871, v148
	v_fmac_f32_e32 v9, 0xbf167918, v27
	;; [unrolled: 1-line block ×5, first 2 shown]
	v_add_nc_u32_e32 v10, 0x2c00, v68
	buffer_store_dword v10, off, s[20:23], 0 offset:208 ; 4-byte Folded Spill
	buffer_store_dword v68, off, s[20:23], 0 offset:224 ; 4-byte Folded Spill
	ds_write2_b64 v10, v[8:9], v[6:7] offset0:92 offset1:217
	v_sub_f32_e32 v8, v142, v49
	v_sub_f32_e32 v9, v35, v51
	v_add_f32_e32 v6, v37, v49
	v_add_f32_e32 v7, v145, v50
	v_sub_f32_e32 v10, v124, v50
	ds_write_b64 v68, v[4:5] offset:14000
	v_add_f32_e32 v20, v8, v9
	v_fmamk_f32 v8, v144, 0x3f737871, v2
	v_fmamk_f32 v9, v147, 0xbf737871, v3
	v_add_f32_e32 v6, v6, v51
	v_add_f32_e32 v7, v7, v38
	;; [unrolled: 1-line block ×3, first 2 shown]
	v_fmac_f32_e32 v8, 0x3f167918, v143
	v_fmac_f32_e32 v9, 0xbf167918, v146
	v_add_f32_e32 v6, v6, v35
	v_add_f32_e32 v7, v7, v36
	v_add_nc_u32_e32 v11, 0x3800, v31
	v_fmac_f32_e32 v8, 0x3e9e377a, v20
	v_fmac_f32_e32 v9, 0x3e9e377a, v10
	;; [unrolled: 1-line block ×4, first 2 shown]
	buffer_store_dword v11, off, s[20:23], 0 offset:212 ; 4-byte Folded Spill
	v_lshlrev_b32_e32 v4, 5, v26
	ds_write2_b64 v11, v[6:7], v[8:9] offset0:83 offset1:208
	v_add_f32_e32 v6, v18, v16
	v_add_f32_e32 v7, v41, v17
	v_sub_f32_e32 v8, v15, v16
	v_sub_f32_e32 v9, v12, v14
	;; [unrolled: 1-line block ×3, first 2 shown]
	v_add_f32_e32 v6, v6, v14
	v_add_f32_e32 v7, v7, v19
	v_fmac_f32_e32 v2, 0xbf167918, v143
	v_fmac_f32_e32 v3, 0x3f167918, v146
	buffer_store_dword v31, off, s[20:23], 0 offset:220 ; 4-byte Folded Spill
	v_add_f32_e32 v6, v6, v12
	v_add_f32_e32 v7, v7, v13
	v_sub_f32_e32 v12, v13, v19
	v_add_f32_e32 v13, v8, v9
	v_fmamk_f32 v8, v40, 0x3f737871, v0
	v_fmamk_f32 v9, v127, 0xbf737871, v1
	v_fmac_f32_e32 v0, 0xbf737871, v40
	v_fmac_f32_e32 v1, 0x3f737871, v127
	v_add_f32_e32 v11, v11, v12
	v_fmac_f32_e32 v2, 0x3e9e377a, v20
	v_fmac_f32_e32 v3, 0x3e9e377a, v10
	v_fmac_f32_e32 v0, 0xbf167918, v33
	v_fmac_f32_e32 v1, 0x3f167918, v126
	v_fmac_f32_e32 v8, 0x3f167918, v33
	v_fmac_f32_e32 v9, 0xbf167918, v126
	ds_write_b64 v31, v[2:3] offset:19000
	v_fmac_f32_e32 v0, 0x3e9e377a, v13
	v_fmac_f32_e32 v1, 0x3e9e377a, v11
	v_add_co_u32 v2, s6, s10, v43
	v_fmac_f32_e32 v8, 0x3e9e377a, v13
	v_fmac_f32_e32 v9, 0x3e9e377a, v11
	v_add_nc_u32_e32 v12, 0x4c00, v30
	v_add_co_ci_u32_e64 v3, null, s11, 0, s6
	ds_write_b64 v30, v[0:1] offset:24000
	v_add_co_u32 v0, vcc_lo, 0x1000, v2
	ds_write2_b64 v12, v[6:7], v[8:9] offset0:68 offset1:193
	v_add_co_u32 v6, s6, s10, v4
	v_add_co_ci_u32_e32 v1, vcc_lo, 0, v3, vcc_lo
	v_add_co_u32 v2, vcc_lo, 0x1360, v2
	v_add_co_ci_u32_e64 v7, null, s11, 0, s6
	v_add_co_ci_u32_e32 v3, vcc_lo, 0, v3, vcc_lo
	v_add_co_u32 v4, vcc_lo, 0x1000, v6
	v_add_co_ci_u32_e32 v5, vcc_lo, 0, v7, vcc_lo
	v_add_co_u32 v6, vcc_lo, 0x1360, v6
	buffer_store_dword v30, off, s[20:23], 0 offset:216 ; 4-byte Folded Spill
	buffer_store_dword v12, off, s[20:23], 0 offset:228 ; 4-byte Folded Spill
	s_waitcnt lgkmcnt(0)
	s_waitcnt_vscnt null, 0x0
	s_barrier
	buffer_gl0_inv
	s_clause 0x1
	global_load_dwordx4 v[208:211], v[0:1], off offset:864
	global_load_dwordx4 v[200:203], v[2:3], off offset:16
	v_add_co_ci_u32_e32 v7, vcc_lo, 0, v7, vcc_lo
	ds_read2_b64 v[38:41], v239 offset0:98 offset1:223
	s_clause 0x1
	global_load_dwordx4 v[204:207], v[4:5], off offset:864
	global_load_dwordx4 v[196:199], v[6:7], off offset:16
	ds_read2_b64 v[48:51], v29 offset0:68 offset1:193
	ds_read2_b64 v[140:143], v254 offset0:110 offset1:235
	s_waitcnt vmcnt(3) lgkmcnt(2)
	v_mul_f32_e32 v0, v39, v211
	v_mul_f32_e32 v124, v38, v211
	s_waitcnt vmcnt(2) lgkmcnt(1)
	v_mul_f32_e32 v126, v48, v203
	v_fma_f32 v125, v38, v210, -v0
	s_waitcnt vmcnt(1)
	v_mul_f32_e32 v0, v41, v207
	s_waitcnt lgkmcnt(0)
	v_mul_f32_e32 v4, v141, v205
	v_mul_f32_e32 v170, v140, v205
	v_fmac_f32_e32 v124, v39, v210
	v_fmac_f32_e32 v126, v49, v202
	v_fma_f32 v165, v40, v206, -v0
	v_mul_f32_e32 v0, v49, v203
	v_fma_f32 v171, v140, v204, -v4
	v_fmac_f32_e32 v170, v141, v204
	v_mul_f32_e32 v164, v40, v207
	s_waitcnt vmcnt(0)
	v_mul_f32_e32 v166, v50, v199
	v_fma_f32 v127, v48, v202, -v0
	v_mul_f32_e32 v0, v51, v199
	v_fmac_f32_e32 v164, v41, v206
	v_fmac_f32_e32 v166, v51, v198
	v_fma_f32 v167, v50, v198, -v0
	v_lshlrev_b32_e32 v0, 5, v42
	v_sub_f32_e32 v236, v171, v167
	v_add_co_u32 v2, s6, s10, v0
	v_add_co_ci_u32_e64 v3, null, s11, 0, s6
	v_add_co_u32 v0, vcc_lo, 0x1000, v2
	v_add_co_ci_u32_e32 v1, vcc_lo, 0, v3, vcc_lo
	v_add_co_u32 v2, vcc_lo, 0x1360, v2
	v_add_co_ci_u32_e32 v3, vcc_lo, 0, v3, vcc_lo
	s_clause 0x1
	global_load_dwordx4 v[192:195], v[0:1], off offset:864
	global_load_dwordx4 v[188:191], v[2:3], off offset:16
	ds_read2_b64 v[152:155], v255 offset0:116 offset1:241
	ds_read2_b64 v[156:159], v28 offset0:86 offset1:211
	s_waitcnt lgkmcnt(1)
	v_mul_f32_e32 v7, v154, v209
	s_waitcnt lgkmcnt(0)
	v_mul_f32_e32 v6, v158, v201
	v_fmac_f32_e32 v7, v155, v208
	v_fmac_f32_e32 v6, v159, v200
	v_sub_f32_e32 v2, v7, v124
	v_sub_f32_e32 v3, v126, v6
	;; [unrolled: 1-line block ×5, first 2 shown]
	v_add_f32_e32 v9, v2, v3
	s_waitcnt vmcnt(1)
	v_mul_f32_e32 v0, v143, v193
	v_mul_f32_e32 v172, v142, v193
	v_fma_f32 v173, v142, v192, -v0
	v_fmac_f32_e32 v172, v143, v192
	ds_read2_b64 v[140:143], v233 offset0:80 offset1:205
	s_waitcnt lgkmcnt(0)
	v_mul_f32_e32 v0, v141, v197
	v_mul_f32_e32 v174, v140, v197
	s_waitcnt vmcnt(0)
	v_mul_f32_e32 v169, v142, v189
	v_fma_f32 v175, v140, v196, -v0
	v_mul_f32_e32 v0, v143, v189
	v_fmac_f32_e32 v174, v141, v196
	v_fmac_f32_e32 v169, v143, v188
	v_fma_f32 v168, v142, v188, -v0
	v_mul_f32_e32 v0, v155, v209
	ds_read2_b64 v[140:143], v237 offset1:125
	v_sub_f32_e32 v155, v166, v174
	v_fma_f32 v4, v154, v208, -v0
	v_mul_f32_e32 v0, v159, v201
	v_sub_f32_e32 v159, v170, v166
	v_sub_f32_e32 v154, v170, v164
	;; [unrolled: 1-line block ×3, first 2 shown]
	v_fma_f32 v5, v158, v200, -v0
	v_sub_f32_e32 v0, v4, v125
	v_add_f32_e32 v15, v4, v127
	v_sub_f32_e32 v14, v125, v4
	v_sub_f32_e32 v158, v164, v174
	;; [unrolled: 1-line block ×5, first 2 shown]
	v_add_f32_e32 v8, v0, v1
	v_add_f32_e32 v0, v125, v5
	;; [unrolled: 1-line block ×4, first 2 shown]
	s_waitcnt lgkmcnt(0)
	v_fma_f32 v0, -0.5, v0, v140
	v_fma_f32 v1, -0.5, v1, v141
	v_fmamk_f32 v2, v10, 0x3f737871, v0
	v_fmamk_f32 v3, v12, 0xbf737871, v1
	v_fmac_f32_e32 v0, 0xbf737871, v10
	v_fmac_f32_e32 v1, 0x3f737871, v12
	;; [unrolled: 1-line block ×10, first 2 shown]
	ds_write_b64 v237, v[2:3] offset:5000
	v_add_f32_e32 v3, v141, v7
	v_add_f32_e32 v2, v140, v4
	ds_write_b64 v237, v[0:1] offset:20000
	v_add_f32_e32 v0, v142, v171
	v_add_f32_e32 v1, v143, v170
	v_add_f32_e32 v3, v3, v124
	v_add_f32_e32 v2, v2, v125
	v_add_f32_e32 v0, v0, v165
	v_add_f32_e32 v1, v1, v164
	v_add_f32_e32 v3, v3, v6
	v_add_f32_e32 v2, v2, v5
	v_sub_f32_e32 v6, v6, v126
	v_add_f32_e32 v0, v0, v175
	v_add_f32_e32 v1, v1, v174
	;; [unrolled: 1-line block ×5, first 2 shown]
	v_fma_f32 v2, -0.5, v15, v140
	v_add_f32_e32 v15, v17, v6
	v_fma_f32 v3, -0.5, v3, v141
	v_fmamk_f32 v6, v11, 0xbf737871, v2
	v_fmac_f32_e32 v2, 0x3f737871, v11
	v_fmamk_f32 v7, v13, 0x3f737871, v3
	v_fmac_f32_e32 v3, 0xbf737871, v13
	v_fmac_f32_e32 v6, 0x3f167918, v10
	;; [unrolled: 1-line block ×9, first 2 shown]
	ds_write_b64 v237, v[6:7] offset:10000
	v_add_f32_e32 v6, v0, v167
	v_add_f32_e32 v7, v1, v166
	ds_write_b64 v237, v[2:3] offset:15000
	ds_read_b64 v[8:9], v237 offset:24000
	ds_read2_b64 v[176:179], v241 offset0:122 offset1:247
	ds_read2_b64 v[144:147], v238 offset0:92 offset1:217
	;; [unrolled: 1-line block ×5, first 2 shown]
	v_sub_f32_e32 v235, v165, v175
	ds_write2_b64 v237, v[4:5], v[6:7] offset1:125
	v_add_f32_e32 v4, v165, v175
	v_add_f32_e32 v5, v171, v167
	v_sub_f32_e32 v6, v175, v167
	v_sub_f32_e32 v7, v174, v166
	v_fma_f32 v4, -0.5, v4, v142
	v_fma_f32 v142, -0.5, v5, v142
	v_sub_f32_e32 v5, v165, v171
	v_add_f32_e32 v40, v5, v6
	v_add_f32_e32 v5, v164, v174
	;; [unrolled: 1-line block ×3, first 2 shown]
	s_waitcnt lgkmcnt(3)
	v_mul_f32_e32 v21, v148, v191
	v_mul_f32_e32 v22, v144, v195
	v_fma_f32 v5, -0.5, v5, v143
	v_fmac_f32_e32 v143, -0.5, v6
	v_sub_f32_e32 v6, v164, v170
	v_fmac_f32_e32 v21, v149, v190
	v_fmac_f32_e32 v22, v145, v194
	v_add_f32_e32 v36, v6, v7
	v_mul_f32_e32 v6, v145, v195
	v_sub_f32_e32 v10, v22, v172
	v_sub_f32_e32 v11, v169, v21
	;; [unrolled: 1-line block ×4, first 2 shown]
	v_fma_f32 v19, v144, v194, -v6
	v_mul_f32_e32 v6, v149, v191
	v_add_f32_e32 v28, v10, v11
	v_fmamk_f32 v10, v158, 0xbf737871, v142
	v_fmac_f32_e32 v142, 0x3f737871, v158
	v_sub_f32_e32 v26, v19, v168
	v_fma_f32 v20, v148, v190, -v6
	v_sub_f32_e32 v6, v19, v173
	v_fmamk_f32 v11, v235, 0x3f737871, v143
	v_fmac_f32_e32 v143, 0xbf737871, v235
	v_fmac_f32_e32 v142, 0xbf167918, v159
	v_sub_f32_e32 v7, v168, v20
	v_sub_f32_e32 v27, v173, v20
	v_fmac_f32_e32 v10, 0x3f167918, v159
	v_fmac_f32_e32 v143, 0x3f167918, v236
	v_fmac_f32_e32 v142, 0x3e9e377a, v40
	v_add_f32_e32 v32, v6, v7
	v_add_f32_e32 v6, v173, v20
	;; [unrolled: 1-line block ×3, first 2 shown]
	v_fmac_f32_e32 v143, 0x3e9e377a, v36
	v_fmac_f32_e32 v11, 0xbf167918, v236
	v_fmac_f32_e32 v10, 0x3e9e377a, v40
	v_fma_f32 v6, -0.5, v6, v176
	v_fma_f32 v7, -0.5, v7, v177
	v_fmac_f32_e32 v11, 0x3e9e377a, v36
	v_fmamk_f32 v12, v23, 0xbf737871, v6
	v_fmac_f32_e32 v6, 0x3f737871, v23
	v_fmamk_f32 v13, v26, 0x3f737871, v7
	v_fmac_f32_e32 v7, 0xbf737871, v26
	v_fmac_f32_e32 v12, 0x3f167918, v25
	;; [unrolled: 1-line block ×9, first 2 shown]
	v_add_nc_u32_e32 v32, 0x2800, v237
	ds_write2_b64 v233, v[142:143], v[6:7] offset0:80 offset1:205
	v_lshlrev_b32_e32 v6, 5, v162
	v_add_co_u32 v14, s6, s10, v6
	v_add_co_ci_u32_e64 v15, null, s11, 0, s6
	v_add_co_u32 v6, vcc_lo, 0x1000, v14
	v_add_co_ci_u32_e32 v7, vcc_lo, 0, v15, vcc_lo
	v_add_co_u32 v14, vcc_lo, 0x1360, v14
	v_add_co_ci_u32_e32 v15, vcc_lo, 0, v15, vcc_lo
	s_clause 0x1
	global_load_dwordx4 v[124:127], v[6:7], off offset:864
	global_load_dwordx4 v[140:143], v[14:15], off offset:16
	s_waitcnt vmcnt(1)
	v_mul_f32_e32 v6, v147, v127
	v_mul_f32_e32 v16, v146, v127
	s_waitcnt vmcnt(0)
	v_mul_f32_e32 v34, v150, v143
	s_waitcnt lgkmcnt(3)
	v_mul_f32_e32 v35, v181, v125
	v_fma_f32 v162, v146, v126, -v6
	v_mul_f32_e32 v6, v151, v143
	v_fmac_f32_e32 v16, v147, v126
	v_fmac_f32_e32 v34, v151, v142
	v_fma_f32 v35, v180, v124, -v35
	v_fma_f32 v33, v150, v142, -v6
	v_lshlrev_b32_e32 v6, 5, v163
	v_mul_f32_e32 v163, v180, v125
	v_add_f32_e32 v24, v178, v35
	v_sub_f32_e32 v31, v35, v33
	v_add_co_u32 v14, s6, s10, v6
	v_add_co_ci_u32_e64 v15, null, s11, 0, s6
	v_fmac_f32_e32 v163, v181, v124
	v_add_co_u32 v6, vcc_lo, 0x1000, v14
	v_add_co_ci_u32_e32 v7, vcc_lo, 0, v15, vcc_lo
	v_add_co_u32 v14, vcc_lo, 0x1360, v14
	v_add_co_ci_u32_e32 v15, vcc_lo, 0, v15, vcc_lo
	s_clause 0x1
	global_load_dwordx4 v[144:147], v[6:7], off offset:864
	global_load_dwordx4 v[148:151], v[14:15], off offset:16
	v_add_f32_e32 v42, v179, v163
	v_sub_f32_e32 v29, v163, v34
	v_add_f32_e32 v14, v19, v168
	v_add_f32_e32 v15, v22, v169
	ds_write2_b64 v32, v[10:11], v[12:13] offset0:95 offset1:220
	v_add_f32_e32 v10, v24, v162
	v_add_f32_e32 v11, v42, v16
	v_fma_f32 v14, -0.5, v14, v176
	v_fma_f32 v15, -0.5, v15, v177
	v_add_f32_e32 v176, v176, v173
	v_add_f32_e32 v177, v177, v172
	v_add_nc_u32_e32 v24, 0x3000, v237
	s_mul_hi_u32 s6, s0, 0xffffb5c8
	s_sub_i32 s6, s6, s0
	s_waitcnt vmcnt(1)
	v_mul_f32_e32 v6, v183, v145
	v_mul_f32_e32 v181, v182, v145
	s_waitcnt vmcnt(0) lgkmcnt(3)
	v_mul_f32_e32 v37, v2, v149
	v_mul_f32_e32 v39, v8, v151
	v_fma_f32 v180, v182, v144, -v6
	v_mul_f32_e32 v6, v157, v147
	v_fmac_f32_e32 v181, v183, v144
	v_mul_f32_e32 v183, v0, v141
	v_fmac_f32_e32 v37, v3, v148
	v_fmac_f32_e32 v39, v9, v150
	v_fma_f32 v182, v156, v146, -v6
	v_mul_f32_e32 v156, v156, v147
	v_mul_f32_e32 v6, v1, v141
	v_fmac_f32_e32 v183, v1, v140
	v_add_f32_e32 v1, v35, v33
	v_add_f32_e32 v48, v152, v180
	v_fmac_f32_e32 v156, v157, v146
	v_fma_f32 v157, v0, v140, -v6
	v_mul_f32_e32 v0, v3, v149
	v_sub_f32_e32 v3, v183, v34
	v_add_f32_e32 v50, v153, v181
	v_sub_f32_e32 v7, v37, v39
	v_sub_f32_e32 v17, v16, v183
	v_fma_f32 v18, v2, v148, -v0
	v_mul_f32_e32 v0, v9, v151
	v_sub_f32_e32 v2, v157, v33
	v_sub_f32_e32 v30, v162, v157
	;; [unrolled: 1-line block ×4, first 2 shown]
	v_fma_f32 v38, v8, v150, -v0
	v_add_f32_e32 v0, v162, v157
	v_sub_f32_e32 v69, v181, v39
	v_add_f32_e32 v10, v10, v157
	v_add_f32_e32 v11, v11, v183
	v_sub_f32_e32 v6, v18, v38
	v_fma_f32 v0, -0.5, v0, v178
	v_fma_f32 v178, -0.5, v1, v178
	v_sub_f32_e32 v1, v162, v35
	v_sub_f32_e32 v75, v180, v38
	v_add_f32_e32 v10, v10, v33
	v_add_f32_e32 v11, v11, v34
	;; [unrolled: 1-line block ×5, first 2 shown]
	v_fma_f32 v1, -0.5, v1, v179
	v_fmac_f32_e32 v179, -0.5, v2
	v_sub_f32_e32 v2, v16, v163
	v_add_f32_e32 v43, v2, v3
	v_add_f32_e32 v2, v182, v18
	;; [unrolled: 1-line block ×3, first 2 shown]
	v_fma_f32 v2, -0.5, v2, v152
	v_fma_f32 v152, -0.5, v3, v152
	v_sub_f32_e32 v3, v182, v180
	v_fmamk_f32 v8, v68, 0xbf737871, v152
	v_add_f32_e32 v49, v3, v6
	v_add_f32_e32 v3, v156, v37
	;; [unrolled: 1-line block ×3, first 2 shown]
	v_fmac_f32_e32 v152, 0x3f737871, v68
	v_fmac_f32_e32 v8, 0x3f167918, v69
	v_fma_f32 v3, -0.5, v3, v153
	v_fmac_f32_e32 v153, -0.5, v6
	v_sub_f32_e32 v6, v156, v181
	v_fmac_f32_e32 v152, 0xbf167918, v69
	v_fmac_f32_e32 v8, 0x3e9e377a, v49
	v_fmamk_f32 v9, v74, 0x3f737871, v153
	v_add_f32_e32 v51, v6, v7
	v_fmamk_f32 v6, v17, 0xbf737871, v178
	v_fmac_f32_e32 v178, 0x3f737871, v17
	v_fmamk_f32 v7, v30, 0x3f737871, v179
	v_fmac_f32_e32 v179, 0xbf737871, v30
	v_fmac_f32_e32 v153, 0xbf737871, v74
	;; [unrolled: 1-line block ×15, first 2 shown]
	ds_write2_b64 v232, v[178:179], v[152:153] offset0:74 offset1:199
	v_sub_f32_e32 v152, v171, v165
	v_sub_f32_e32 v153, v167, v175
	v_add_f32_e32 v165, v154, v155
	v_fmamk_f32 v154, v25, 0x3f737871, v14
	v_fmamk_f32 v155, v27, 0xbf737871, v15
	v_fmac_f32_e32 v14, 0xbf737871, v25
	v_add_f32_e32 v164, v152, v153
	v_sub_f32_e32 v152, v173, v19
	v_sub_f32_e32 v153, v20, v168
	v_fmac_f32_e32 v15, 0x3f737871, v27
	v_fmac_f32_e32 v14, 0xbf167918, v23
	;; [unrolled: 1-line block ×3, first 2 shown]
	v_add_nc_u32_e32 v25, 0x5800, v237
	v_add_f32_e32 v166, v152, v153
	v_sub_f32_e32 v152, v172, v22
	v_sub_f32_e32 v153, v21, v169
	v_fmac_f32_e32 v15, 0x3f167918, v26
	v_add_nc_u32_e32 v26, 0x5000, v237
	v_fmac_f32_e32 v14, 0x3e9e377a, v166
	v_fmac_f32_e32 v154, 0x3f167918, v23
	v_add_f32_e32 v167, v152, v153
	v_fmamk_f32 v152, v159, 0x3f737871, v4
	v_fmamk_f32 v153, v236, 0xbf737871, v5
	v_fmac_f32_e32 v4, 0xbf737871, v159
	v_fmac_f32_e32 v5, 0x3f737871, v236
	;; [unrolled: 1-line block ×13, first 2 shown]
	ds_write2_b64 v24, v[6:7], v[8:9] offset0:89 offset1:214
	v_add_nc_u32_e32 v23, 0x4c00, v237
	ds_write2_b64 v26, v[4:5], v[14:15] offset0:65 offset1:190
	v_add_f32_e32 v4, v176, v19
	v_add_f32_e32 v5, v177, v22
	ds_write2_b64 v254, v[152:153], v[154:155] offset0:110 offset1:235
	v_add_f32_e32 v4, v4, v168
	v_add_f32_e32 v5, v5, v169
	;; [unrolled: 1-line block ×4, first 2 shown]
	v_add_nc_u32_e32 v21, 0x3400, v237
	ds_write2_b64 v241, v[4:5], v[10:11] offset0:122 offset1:247
	v_sub_f32_e32 v4, v35, v162
	v_sub_f32_e32 v5, v33, v157
	;; [unrolled: 1-line block ×4, first 2 shown]
	v_add_f32_e32 v12, v4, v5
	v_sub_f32_e32 v4, v180, v182
	v_sub_f32_e32 v5, v38, v18
	v_add_f32_e32 v13, v10, v11
	v_fmamk_f32 v10, v69, 0x3f737871, v2
	v_fmamk_f32 v11, v75, 0xbf737871, v3
	v_fmac_f32_e32 v2, 0xbf737871, v69
	v_add_f32_e32 v14, v4, v5
	v_sub_f32_e32 v4, v181, v156
	v_sub_f32_e32 v5, v39, v37
	v_fmac_f32_e32 v3, 0x3f737871, v75
	v_fmac_f32_e32 v2, 0xbf167918, v68
	;; [unrolled: 1-line block ×4, first 2 shown]
	v_add_f32_e32 v15, v4, v5
	v_fmamk_f32 v4, v29, 0x3f737871, v0
	v_fmamk_f32 v5, v31, 0xbf737871, v1
	v_fmac_f32_e32 v0, 0xbf737871, v29
	v_fmac_f32_e32 v1, 0x3f737871, v31
	v_fmac_f32_e32 v3, 0x3f167918, v74
	v_fmac_f32_e32 v2, 0x3e9e377a, v14
	v_fmac_f32_e32 v4, 0x3f167918, v17
	v_fmac_f32_e32 v0, 0xbf167918, v17
	v_fmac_f32_e32 v1, 0x3f167918, v30
	v_fmac_f32_e32 v3, 0x3e9e377a, v15
	v_fmac_f32_e32 v5, 0xbf167918, v30
	v_fmac_f32_e32 v4, 0x3e9e377a, v12
	v_fmac_f32_e32 v0, 0x3e9e377a, v12
	v_fmac_f32_e32 v1, 0x3e9e377a, v13
	v_fmac_f32_e32 v10, 0x3e9e377a, v14
	v_fmac_f32_e32 v5, 0x3e9e377a, v13
	v_fmac_f32_e32 v11, 0x3e9e377a, v15
	v_mov_b32_e32 v29, v234
	ds_write2_b64 v25, v[0:1], v[2:3] offset0:59 offset1:184
	v_add_f32_e32 v0, v48, v182
	v_add_f32_e32 v1, v50, v156
	ds_write2_b64 v240, v[4:5], v[10:11] offset0:104 offset1:229
	v_mov_b32_e32 v31, v240
	v_mov_b32_e32 v74, v232
	v_add_f32_e32 v0, v0, v18
	v_add_f32_e32 v1, v1, v37
	v_mov_b32_e32 v75, v233
	v_add_f32_e32 v0, v0, v38
	v_add_f32_e32 v1, v1, v39
	ds_write_b64 v237, v[0:1] offset:4000
	v_add_co_u32 v0, vcc_lo, 0x6000, v160
	v_add_co_ci_u32_e32 v1, vcc_lo, 0, v161, vcc_lo
	s_waitcnt lgkmcnt(0)
	s_barrier
	buffer_gl0_inv
	global_load_dwordx2 v[4:5], v[0:1], off offset:424
	v_add_co_u32 v6, vcc_lo, 0x7000, v160
	v_add_co_ci_u32_e32 v7, vcc_lo, 0, v161, vcc_lo
	v_add_co_u32 v8, vcc_lo, 0x61a8, v160
	v_add_co_ci_u32_e32 v9, vcc_lo, 0, v161, vcc_lo
	s_clause 0x1
	global_load_dwordx2 v[10:11], v[6:7], off offset:328
	global_load_dwordx2 v[12:13], v[8:9], off offset:2000
	ds_read2_b64 v[0:3], v237 offset1:125
	s_waitcnt vmcnt(2) lgkmcnt(0)
	v_mul_f32_e32 v14, v1, v5
	v_mul_f32_e32 v15, v0, v5
	v_fma_f32 v14, v0, v4, -v14
	v_fmac_f32_e32 v15, v1, v4
	global_load_dwordx2 v[0:1], v[8:9], off offset:1000
	ds_write_b64 v237, v[14:15]
	s_waitcnt vmcnt(0)
	v_mul_f32_e32 v4, v3, v1
	v_mul_f32_e32 v17, v2, v1
	v_fma_f32 v16, v2, v0, -v4
	v_fmac_f32_e32 v17, v3, v0
	v_add_co_u32 v0, vcc_lo, 0x8800, v160
	v_add_co_ci_u32_e32 v1, vcc_lo, 0, v161, vcc_lo
	s_clause 0x1
	global_load_dwordx2 v[8:9], v[0:1], off offset:184
	global_load_dwordx2 v[14:15], v[0:1], off offset:1184
	v_add_co_u32 v152, vcc_lo, 0x9800, v160
	v_add_co_ci_u32_e32 v153, vcc_lo, 0, v161, vcc_lo
	s_clause 0x1
	global_load_dwordx2 v[154:155], v[152:153], off offset:88
	global_load_dwordx2 v[6:7], v[6:7], off offset:1328
	ds_read2_b64 v[0:3], v239 offset0:98 offset1:223
	s_waitcnt vmcnt(3) lgkmcnt(0)
	v_mul_f32_e32 v4, v1, v9
	v_mul_f32_e32 v157, v0, v9
	s_waitcnt vmcnt(2)
	v_mul_f32_e32 v9, v2, v15
	v_fma_f32 v156, v0, v8, -v4
	v_mul_f32_e32 v0, v3, v15
	v_fmac_f32_e32 v157, v1, v8
	v_fmac_f32_e32 v9, v3, v14
	v_fma_f32 v8, v2, v14, -v0
	v_add_co_u32 v0, vcc_lo, 0xa800, v160
	v_add_co_ci_u32_e32 v1, vcc_lo, 0, v161, vcc_lo
	v_add_co_u32 v14, vcc_lo, 0x7800, v160
	v_add_co_ci_u32_e32 v15, vcc_lo, 0, v161, vcc_lo
	s_clause 0x2
	global_load_dwordx2 v[158:159], v[0:1], off offset:1992
	global_load_dwordx2 v[162:163], v[14:15], off offset:280
	;; [unrolled: 1-line block ×3, first 2 shown]
	ds_read2_b64 v[0:3], v23 offset0:68 offset1:193
	s_waitcnt vmcnt(2) lgkmcnt(0)
	v_mul_f32_e32 v4, v1, v159
	v_mul_f32_e32 v167, v0, v159
	v_fma_f32 v166, v0, v158, -v4
	v_add_co_u32 v0, vcc_lo, 0xb000, v160
	v_fmac_f32_e32 v167, v1, v158
	v_add_co_ci_u32_e32 v1, vcc_lo, 0, v161, vcc_lo
	v_add_co_u32 v158, vcc_lo, 0x9000, v160
	v_add_co_ci_u32_e32 v159, vcc_lo, 0, v161, vcc_lo
	s_clause 0x2
	global_load_dwordx2 v[168:169], v[0:1], off offset:944
	global_load_dwordx2 v[170:171], v[158:159], off offset:1136
	;; [unrolled: 1-line block ×3, first 2 shown]
	s_waitcnt vmcnt(2)
	v_mul_f32_e32 v0, v3, v169
	v_mul_f32_e32 v175, v2, v169
	v_fma_f32 v174, v2, v168, -v0
	v_fmac_f32_e32 v175, v3, v168
	ds_read2_b64 v[0:3], v254 offset0:110 offset1:235
	s_waitcnt lgkmcnt(0)
	v_mul_f32_e32 v4, v1, v163
	v_mul_f32_e32 v169, v0, v163
	v_fma_f32 v168, v0, v162, -v4
	v_fmac_f32_e32 v169, v1, v162
	global_load_dwordx2 v[0:1], v[14:15], off offset:1280
	v_add_co_u32 v14, vcc_lo, 0xa000, v160
	v_add_co_ci_u32_e32 v15, vcc_lo, 0, v161, vcc_lo
	s_clause 0x2
	global_load_dwordx2 v[162:163], v[14:15], off offset:40
	global_load_dwordx2 v[176:177], v[14:15], off offset:1040
	;; [unrolled: 1-line block ×3, first 2 shown]
	s_waitcnt vmcnt(3)
	v_mul_f32_e32 v4, v3, v1
	v_mul_f32_e32 v179, v2, v1
	v_fma_f32 v178, v2, v0, -v4
	v_fmac_f32_e32 v179, v3, v0
	ds_read2_b64 v[0:3], v233 offset0:80 offset1:205
	s_waitcnt vmcnt(2) lgkmcnt(0)
	v_mul_f32_e32 v4, v1, v163
	v_mul_f32_e32 v181, v0, v163
	s_waitcnt vmcnt(1)
	v_mul_f32_e32 v163, v2, v177
	v_fma_f32 v180, v0, v162, -v4
	v_mul_f32_e32 v0, v3, v177
	v_fmac_f32_e32 v181, v1, v162
	v_fmac_f32_e32 v163, v3, v176
	v_fma_f32 v162, v2, v176, -v0
	ds_read2_b64 v[0:3], v241 offset0:122 offset1:247
	s_waitcnt lgkmcnt(0)
	v_mul_f32_e32 v4, v1, v13
	v_mul_f32_e32 v177, v0, v13
	v_fma_f32 v176, v0, v12, -v4
	v_add_co_u32 v0, vcc_lo, 0x6800, v160
	v_fmac_f32_e32 v177, v1, v12
	v_add_co_ci_u32_e32 v1, vcc_lo, 0, v161, vcc_lo
	v_add_co_u32 v12, vcc_lo, 0x8000, v160
	v_add_co_ci_u32_e32 v13, vcc_lo, 0, v161, vcc_lo
	s_clause 0x3
	global_load_dwordx2 v[0:1], v[0:1], off offset:1376
	global_load_dwordx2 v[182:183], v[12:13], off offset:232
	;; [unrolled: 1-line block ×4, first 2 shown]
	v_add_co_u32 v160, vcc_lo, 0xb800, v160
	v_add_co_ci_u32_e32 v161, vcc_lo, 0, v161, vcc_lo
	s_waitcnt vmcnt(3)
	v_mul_f32_e32 v4, v3, v1
	v_mul_f32_e32 v236, v2, v1
	v_fma_f32 v235, v2, v0, -v4
	v_fmac_f32_e32 v236, v3, v0
	ds_read2_b64 v[0:3], v238 offset0:92 offset1:217
	s_waitcnt vmcnt(0) lgkmcnt(0)
	v_mul_f32_e32 v4, v1, v159
	v_mul_f32_e32 v5, v0, v159
	;; [unrolled: 1-line block ×3, first 2 shown]
	v_fma_f32 v4, v0, v158, -v4
	v_mul_f32_e32 v0, v3, v171
	v_fmac_f32_e32 v5, v1, v158
	v_fmac_f32_e32 v19, v3, v170
	v_fma_f32 v18, v2, v170, -v0
	ds_read2_b64 v[0:3], v234 offset0:62 offset1:187
	v_mov_b32_e32 v234, v255
	s_waitcnt lgkmcnt(0)
	v_mul_f32_e32 v20, v1, v173
	v_mul_f32_e32 v159, v0, v173
	v_fma_f32 v158, v0, v172, -v20
	v_fmac_f32_e32 v159, v1, v172
	global_load_dwordx2 v[0:1], v[160:161], off offset:896
	s_waitcnt vmcnt(0)
	v_mul_f32_e32 v20, v3, v1
	v_mul_f32_e32 v171, v2, v1
	v_fma_f32 v170, v2, v0, -v20
	v_fmac_f32_e32 v171, v3, v0
	ds_read2_b64 v[0:3], v255 offset0:116 offset1:241
	s_waitcnt lgkmcnt(0)
	v_mul_f32_e32 v20, v3, v7
	v_mul_f32_e32 v173, v2, v7
	;; [unrolled: 1-line block ×3, first 2 shown]
	v_fma_f32 v172, v2, v6, -v20
	v_mul_f32_e32 v2, v1, v11
	v_fmac_f32_e32 v173, v3, v6
	v_fmac_f32_e32 v7, v1, v10
	v_fma_f32 v6, v0, v10, -v2
	ds_read2_b64 v[0:3], v240 offset0:104 offset1:229
	v_mov_b32_e32 v240, v23
	s_waitcnt lgkmcnt(0)
	v_mul_f32_e32 v10, v1, v183
	v_mul_f32_e32 v11, v0, v183
	;; [unrolled: 1-line block ×3, first 2 shown]
	v_fma_f32 v10, v0, v182, -v10
	v_mul_f32_e32 v0, v3, v13
	v_fmac_f32_e32 v11, v1, v182
	v_fmac_f32_e32 v183, v3, v12
	v_fma_f32 v182, v2, v12, -v0
	global_load_dwordx2 v[12:13], v[152:153], off offset:1088
	ds_read2_b64 v[0:3], v21 offset0:86 offset1:211
	s_waitcnt vmcnt(0) lgkmcnt(0)
	v_mul_f32_e32 v20, v3, v13
	v_mul_f32_e32 v153, v2, v13
	;; [unrolled: 1-line block ×3, first 2 shown]
	v_fma_f32 v152, v2, v12, -v20
	v_mul_f32_e32 v2, v1, v155
	v_fmac_f32_e32 v153, v3, v12
	v_fmac_f32_e32 v13, v1, v154
	v_fma_f32 v12, v0, v154, -v2
	ds_read2_b64 v[0:3], v232 offset0:74 offset1:199
	v_mov_b32_e32 v232, v31
	s_waitcnt lgkmcnt(0)
	v_mul_f32_e32 v20, v1, v15
	v_mul_f32_e32 v155, v0, v15
	v_fma_f32 v154, v0, v14, -v20
	v_mul_f32_e32 v0, v3, v165
	v_fmac_f32_e32 v155, v1, v14
	v_mul_f32_e32 v1, v2, v165
	v_fma_f32 v0, v2, v164, -v0
	v_add_nc_u32_e32 v2, 0x1000, v237
	v_fmac_f32_e32 v1, v3, v164
	ds_write2_b64 v2, v[172:173], v[168:169] offset0:113 offset1:238
	v_add_nc_u32_e32 v2, 0x3800, v237
	ds_write2_b64 v2, v[152:153], v[180:181] offset0:83 offset1:208
	v_add_nc_u32_e32 v2, 0x1800, v237
	;; [unrolled: 2-line block ×6, first 2 shown]
	ds_write2_b64 v2, v[0:1], v[166:167] offset0:71 offset1:196
	global_load_dwordx2 v[0:1], v[160:161], off offset:1896
	ds_read_b64 v[2:3], v237 offset:24000
	s_waitcnt vmcnt(0) lgkmcnt(0)
	v_mul_f32_e32 v6, v3, v1
	v_mul_f32_e32 v7, v2, v1
	v_fma_f32 v6, v2, v0, -v6
	v_fmac_f32_e32 v7, v3, v0
	ds_write2_b64 v237, v[16:17], v[176:177] offset0:125 offset1:250
	ds_write2_b64 v32, v[8:9], v[4:5] offset0:95 offset1:220
	;; [unrolled: 1-line block ×5, first 2 shown]
	s_waitcnt lgkmcnt(0)
	s_barrier
	buffer_gl0_inv
	ds_read2_b64 v[152:155], v255 offset0:116 offset1:241
	ds_read2_b64 v[180:183], v239 offset0:98 offset1:223
	;; [unrolled: 1-line block ×4, first 2 shown]
	v_mov_b32_e32 v255, v239
	v_mov_b32_e32 v239, v21
	s_waitcnt lgkmcnt(2)
	v_sub_f32_e32 v0, v154, v180
	s_waitcnt lgkmcnt(1)
	v_sub_f32_e32 v25, v181, v159
	;; [unrolled: 2-line block ×3, first 2 shown]
	v_sub_f32_e32 v24, v155, v13
	v_sub_f32_e32 v26, v154, v12
	;; [unrolled: 1-line block ×3, first 2 shown]
	v_add_f32_e32 v22, v0, v1
	ds_read2_b64 v[0:3], v237 offset1:125
	s_waitcnt lgkmcnt(0)
	v_add_f32_e32 v4, v0, v154
	v_add_f32_e32 v5, v1, v155
	;; [unrolled: 1-line block ×10, first 2 shown]
	v_fma_f32 v18, -0.5, v4, v0
	v_fma_f32 v19, -0.5, v5, v1
	v_sub_f32_e32 v4, v155, v181
	v_sub_f32_e32 v5, v13, v159
	v_fmamk_f32 v16, v24, 0xbf737871, v18
	v_fmamk_f32 v17, v26, 0x3f737871, v19
	v_fmac_f32_e32 v18, 0x3f737871, v24
	v_add_f32_e32 v23, v4, v5
	ds_read_b64 v[235:236], v237 offset:24000
	ds_read2_b64 v[4:7], v254 offset0:110 offset1:235
	ds_read2_b64 v[8:11], v233 offset0:80 offset1:205
	;; [unrolled: 1-line block ×7, first 2 shown]
	s_waitcnt lgkmcnt(0)
	s_barrier
	buffer_gl0_inv
	buffer_load_dword v28, off, s[20:23], 0 offset:172 ; 4-byte Folded Reload
	v_fmac_f32_e32 v16, 0xbf167918, v25
	v_fmac_f32_e32 v17, 0x3f167918, v27
	;; [unrolled: 1-line block ×4, first 2 shown]
	v_mov_b32_e32 v233, v29
	v_fmac_f32_e32 v16, 0x3e9e377a, v22
	v_fmac_f32_e32 v17, 0x3e9e377a, v23
	;; [unrolled: 1-line block ×4, first 2 shown]
	v_sub_f32_e32 v22, v4, v14
	v_fmac_f32_e32 v19, 0x3e9e377a, v23
	v_sub_f32_e32 v23, v162, v235
	s_waitcnt vmcnt(0)
	ds_write2_b64 v28, v[20:21], v[16:17] offset1:1
	v_sub_f32_e32 v17, v158, v12
	v_add_f32_e32 v12, v154, v12
	v_sub_f32_e32 v16, v180, v154
	ds_write_b64 v28, v[18:19] offset:32
	v_sub_f32_e32 v18, v5, v15
	v_add_f32_e32 v19, v3, v5
	v_fma_f32 v0, -0.5, v12, v0
	v_add_f32_e32 v16, v16, v17
	v_sub_f32_e32 v17, v183, v9
	v_sub_f32_e32 v20, v9, v15
	;; [unrolled: 1-line block ×3, first 2 shown]
	v_fmamk_f32 v12, v25, 0x3f737871, v0
	v_fmac_f32_e32 v0, 0xbf737871, v25
	v_sub_f32_e32 v25, v163, v236
	v_fmac_f32_e32 v12, 0xbf167918, v24
	v_fmac_f32_e32 v0, 0x3f167918, v24
	v_sub_f32_e32 v24, v236, v163
	v_fmac_f32_e32 v12, 0x3e9e377a, v16
	v_fmac_f32_e32 v0, 0x3e9e377a, v16
	v_add_f32_e32 v16, v155, v13
	v_sub_f32_e32 v13, v159, v13
	v_fma_f32 v1, -0.5, v16, v1
	v_sub_f32_e32 v16, v181, v155
	v_add_f32_e32 v16, v16, v13
	v_fmamk_f32 v13, v27, 0xbf737871, v1
	v_fmac_f32_e32 v1, 0x3f737871, v27
	v_fmac_f32_e32 v13, 0x3f167918, v26
	;; [unrolled: 1-line block ×5, first 2 shown]
	v_add_f32_e32 v16, v2, v4
	ds_write2_b64 v28, v[12:13], v[0:1] offset0:2 offset1:3
	v_add_f32_e32 v0, v182, v8
	v_add_f32_e32 v1, v4, v14
	v_sub_f32_e32 v12, v8, v14
	v_add_f32_e32 v13, v5, v15
	v_fma_f32 v0, -0.5, v0, v2
	v_fma_f32 v2, -0.5, v1, v2
	v_sub_f32_e32 v1, v182, v4
	v_sub_f32_e32 v4, v4, v182
	v_add_f32_e32 v1, v1, v12
	v_fmamk_f32 v12, v17, 0x3f737871, v2
	v_fmac_f32_e32 v2, 0xbf737871, v17
	v_fmac_f32_e32 v12, 0xbf167918, v18
	;; [unrolled: 1-line block ×5, first 2 shown]
	v_add_f32_e32 v1, v183, v9
	v_fma_f32 v1, -0.5, v1, v3
	v_fmac_f32_e32 v3, -0.5, v13
	v_sub_f32_e32 v13, v183, v5
	v_sub_f32_e32 v5, v5, v183
	v_add_f32_e32 v20, v13, v20
	v_fmamk_f32 v13, v21, 0xbf737871, v3
	v_fmac_f32_e32 v3, 0x3f737871, v21
	v_fmac_f32_e32 v13, 0x3f167918, v22
	;; [unrolled: 1-line block ×5, first 2 shown]
	buffer_load_dword v20, off, s[20:23], 0 offset:176 ; 4-byte Folded Reload
	s_waitcnt vmcnt(0)
	ds_write2_b64 v20, v[12:13], v[2:3] offset0:2 offset1:3
	v_add_f32_e32 v2, v16, v182
	buffer_load_dword v16, off, s[20:23], 0 offset:180 ; 4-byte Folded Reload
	v_add_f32_e32 v3, v19, v183
	v_sub_f32_e32 v12, v7, v169
	v_sub_f32_e32 v13, v173, v11
	v_add_f32_e32 v2, v2, v8
	v_sub_f32_e32 v8, v14, v8
	v_add_f32_e32 v3, v3, v9
	;; [unrolled: 2-line block ×3, first 2 shown]
	v_add_f32_e32 v2, v2, v14
	v_add_f32_e32 v8, v4, v8
	v_fmamk_f32 v4, v18, 0xbf737871, v0
	v_add_f32_e32 v9, v5, v9
	v_fmamk_f32 v5, v22, 0x3f737871, v1
	v_fmac_f32_e32 v0, 0x3f737871, v18
	v_fmac_f32_e32 v1, 0xbf737871, v22
	;; [unrolled: 1-line block ×3, first 2 shown]
	v_add_f32_e32 v3, v3, v15
	v_fmac_f32_e32 v5, 0x3f167918, v21
	v_fmac_f32_e32 v0, 0x3f167918, v17
	;; [unrolled: 1-line block ×4, first 2 shown]
	v_sub_f32_e32 v14, v6, v168
	v_fmac_f32_e32 v5, 0x3e9e377a, v9
	v_fmac_f32_e32 v0, 0x3e9e377a, v8
	;; [unrolled: 1-line block ×3, first 2 shown]
	v_sub_f32_e32 v15, v172, v10
	v_sub_f32_e32 v18, v167, v236
	ds_write2_b64 v20, v[2:3], v[4:5] offset1:1
	v_add_f32_e32 v2, v172, v10
	ds_write_b64 v20, v[0:1] offset:32
	v_sub_f32_e32 v0, v6, v172
	v_sub_f32_e32 v1, v168, v10
	v_add_f32_e32 v3, v173, v11
	v_fma_f32 v2, -0.5, v2, v176
	v_sub_f32_e32 v4, v7, v173
	v_sub_f32_e32 v5, v169, v11
	v_add_f32_e32 v8, v0, v1
	v_add_f32_e32 v0, v176, v6
	;; [unrolled: 1-line block ×3, first 2 shown]
	v_fma_f32 v3, -0.5, v3, v177
	v_add_f32_e32 v9, v4, v5
	v_fmamk_f32 v4, v12, 0xbf737871, v2
	v_add_f32_e32 v0, v0, v172
	v_add_f32_e32 v1, v1, v173
	v_fmamk_f32 v5, v14, 0x3f737871, v3
	v_fmac_f32_e32 v2, 0x3f737871, v12
	v_fmac_f32_e32 v4, 0xbf167918, v13
	v_add_f32_e32 v0, v0, v10
	v_add_f32_e32 v1, v1, v11
	v_fmac_f32_e32 v5, 0x3f167918, v15
	v_fmac_f32_e32 v3, 0xbf737871, v14
	;; [unrolled: 1-line block ×3, first 2 shown]
	v_add_f32_e32 v0, v0, v168
	v_add_f32_e32 v1, v1, v169
	v_fmac_f32_e32 v5, 0x3e9e377a, v9
	v_fmac_f32_e32 v2, 0x3f167918, v13
	;; [unrolled: 1-line block ×3, first 2 shown]
	v_sub_f32_e32 v20, v166, v235
	v_sub_f32_e32 v22, v235, v162
	v_add_f32_e32 v21, v167, v236
	v_fmac_f32_e32 v2, 0x3e9e377a, v8
	v_fmac_f32_e32 v3, 0x3e9e377a, v9
	v_sub_f32_e32 v8, v161, v171
	v_sub_f32_e32 v9, v174, v160
	;; [unrolled: 1-line block ×3, first 2 shown]
	s_waitcnt vmcnt(0)
	ds_write2_b64 v16, v[0:1], v[4:5] offset1:1
	v_add_f32_e32 v0, v6, v168
	v_sub_f32_e32 v1, v172, v6
	v_add_f32_e32 v4, v7, v169
	v_sub_f32_e32 v6, v10, v168
	v_sub_f32_e32 v5, v173, v7
	v_fma_f32 v0, -0.5, v0, v176
	v_sub_f32_e32 v7, v11, v169
	ds_write_b64 v16, v[2:3] offset:32
	v_add_f32_e32 v6, v1, v6
	v_fma_f32 v1, -0.5, v4, v177
	v_fmamk_f32 v4, v13, 0x3f737871, v0
	v_fmac_f32_e32 v0, 0xbf737871, v13
	v_sub_f32_e32 v2, v160, v170
	v_add_f32_e32 v3, v165, v171
	v_sub_f32_e32 v10, v164, v170
	v_fmac_f32_e32 v4, 0xbf167918, v12
	v_fmac_f32_e32 v0, 0x3f167918, v12
	buffer_load_dword v12, off, s[20:23], 0 offset:188 ; 4-byte Folded Reload
	v_sub_f32_e32 v11, v171, v161
	v_sub_f32_e32 v13, v156, v166
	v_fmac_f32_e32 v4, 0x3e9e377a, v6
	v_fmac_f32_e32 v0, 0x3e9e377a, v6
	v_add_f32_e32 v6, v5, v7
	v_fmamk_f32 v5, v15, 0xbf737871, v1
	v_fmac_f32_e32 v1, 0x3f737871, v15
	v_sub_f32_e32 v7, v165, v171
	v_sub_f32_e32 v15, v156, v162
	v_fmac_f32_e32 v5, 0x3f167918, v14
	v_fmac_f32_e32 v1, 0xbf167918, v14
	v_add_f32_e32 v14, v157, v163
	v_fmac_f32_e32 v5, 0x3e9e377a, v6
	v_fmac_f32_e32 v1, 0x3e9e377a, v6
	v_sub_f32_e32 v6, v175, v161
	ds_write2_b64 v16, v[4:5], v[0:1] offset0:2 offset1:3
	v_add_f32_e32 v0, v174, v160
	v_add_f32_e32 v1, v164, v170
	;; [unrolled: 1-line block ×4, first 2 shown]
	v_sub_f32_e32 v16, v167, v157
	v_fma_f32 v0, -0.5, v0, v178
	v_fma_f32 v178, -0.5, v1, v178
	v_sub_f32_e32 v1, v174, v164
	v_add_f32_e32 v1, v1, v2
	v_fmamk_f32 v2, v6, 0x3f737871, v178
	v_fmac_f32_e32 v178, 0xbf737871, v6
	v_fmac_f32_e32 v2, 0xbf167918, v7
	;; [unrolled: 1-line block ×5, first 2 shown]
	v_add_f32_e32 v1, v175, v161
	v_fma_f32 v1, -0.5, v1, v179
	v_fmac_f32_e32 v179, -0.5, v3
	v_sub_f32_e32 v3, v175, v165
	v_add_f32_e32 v8, v3, v8
	v_fmamk_f32 v3, v9, 0xbf737871, v179
	v_fmac_f32_e32 v179, 0x3f737871, v9
	v_fmac_f32_e32 v3, 0x3f167918, v10
	;; [unrolled: 1-line block ×5, first 2 shown]
	v_sub_f32_e32 v8, v170, v160
	s_waitcnt vmcnt(0)
	ds_write2_b64 v12, v[2:3], v[178:179] offset0:2 offset1:3
	v_add_f32_e32 v3, v5, v175
	v_sub_f32_e32 v5, v165, v175
	v_add_f32_e32 v2, v4, v174
	v_sub_f32_e32 v4, v164, v174
	v_mov_b32_e32 v26, v12
	v_add_f32_e32 v3, v3, v161
	v_add_f32_e32 v11, v5, v11
	v_fmamk_f32 v5, v10, 0x3f737871, v1
	v_fmac_f32_e32 v1, 0xbf737871, v10
	buffer_load_dword v10, off, s[20:23], 0 offset:184 ; 4-byte Folded Reload
	v_add_f32_e32 v8, v4, v8
	v_fmamk_f32 v4, v7, 0xbf737871, v0
	v_add_f32_e32 v2, v2, v160
	v_fmac_f32_e32 v5, 0x3f167918, v9
	v_fmac_f32_e32 v0, 0x3f737871, v7
	v_add_f32_e32 v3, v3, v171
	v_fmac_f32_e32 v4, 0xbf167918, v6
	v_add_f32_e32 v2, v2, v170
	v_fmac_f32_e32 v5, 0x3e9e377a, v11
	v_fmac_f32_e32 v0, 0x3f167918, v6
	;; [unrolled: 1-line block ×4, first 2 shown]
	v_add_f32_e32 v7, v16, v24
	v_add_f32_e32 v9, v13, v23
	v_fmac_f32_e32 v0, 0x3e9e377a, v8
	v_fmac_f32_e32 v1, 0x3e9e377a, v11
	ds_write2_b64 v12, v[2:3], v[4:5] offset1:1
	v_add_f32_e32 v4, v156, v162
	v_add_f32_e32 v2, v152, v166
	;; [unrolled: 1-line block ×3, first 2 shown]
	v_sub_f32_e32 v5, v166, v156
	ds_write_b64 v26, v[0:1] offset:32
	v_fma_f32 v0, -0.5, v4, v152
	v_fma_f32 v1, -0.5, v14, v153
	v_add_f32_e32 v2, v2, v156
	v_add_f32_e32 v3, v3, v157
	v_sub_f32_e32 v12, v157, v163
	v_add_f32_e32 v6, v5, v22
	v_fmamk_f32 v4, v18, 0xbf737871, v0
	v_fmamk_f32 v5, v20, 0x3f737871, v1
	v_add_f32_e32 v2, v2, v162
	v_add_f32_e32 v3, v3, v163
	v_fmac_f32_e32 v153, -0.5, v21
	v_fmac_f32_e32 v4, 0xbf167918, v12
	v_fmac_f32_e32 v5, 0x3f167918, v15
	v_add_f32_e32 v2, v2, v235
	v_add_f32_e32 v3, v3, v236
	v_add_f32_e32 v8, v17, v25
	v_fmac_f32_e32 v4, 0x3e9e377a, v6
	v_fmac_f32_e32 v5, 0x3e9e377a, v7
	;; [unrolled: 1-line block ×8, first 2 shown]
	s_waitcnt vmcnt(0)
	ds_write2_b64 v10, v[2:3], v[4:5] offset1:1
	v_fmamk_f32 v3, v15, 0xbf737871, v153
	v_fmac_f32_e32 v153, 0x3f737871, v15
	v_fma_f32 v4, -0.5, v19, v152
	ds_write_b64 v10, v[0:1] offset:32
	v_fmac_f32_e32 v3, 0x3f167918, v20
	v_fmac_f32_e32 v153, 0xbf167918, v20
	v_fmamk_f32 v2, v12, 0x3f737871, v4
	v_fmac_f32_e32 v4, 0xbf737871, v12
	v_fmac_f32_e32 v3, 0x3e9e377a, v8
	;; [unrolled: 1-line block ×5, first 2 shown]
	v_mov_b32_e32 v5, v153
	v_fmac_f32_e32 v2, 0x3e9e377a, v9
	v_fmac_f32_e32 v4, 0x3e9e377a, v9
	ds_write2_b64 v10, v[2:3], v[4:5] offset0:2 offset1:3
	s_waitcnt lgkmcnt(0)
	s_barrier
	buffer_gl0_inv
	ds_read_b64 v[0:1], v237 offset:24000
	s_waitcnt lgkmcnt(0)
	v_mul_f32_e32 v152, v99, v1
	v_fmac_f32_e32 v152, v98, v0
	v_mul_f32_e32 v0, v99, v0
	v_fma_f32 v98, v98, v1, -v0
	ds_read2_b64 v[0:3], v74 offset0:74 offset1:199
	s_waitcnt lgkmcnt(0)
	v_mul_f32_e32 v99, v97, v3
	v_fmac_f32_e32 v99, v96, v2
	v_mul_f32_e32 v2, v97, v2
	v_mul_f32_e32 v97, v93, v1
	v_fma_f32 v96, v96, v3, -v2
	v_fmac_f32_e32 v97, v92, v0
	v_mul_f32_e32 v0, v93, v0
	v_fma_f32 v92, v92, v1, -v0
	ds_read2_b64 v[0:3], v29 offset0:62 offset1:187
	s_waitcnt lgkmcnt(0)
	v_mul_f32_e32 v93, v95, v3
	v_fmac_f32_e32 v93, v94, v2
	v_mul_f32_e32 v2, v95, v2
	v_mul_f32_e32 v95, v91, v1
	v_fma_f32 v94, v94, v3, -v2
	v_fmac_f32_e32 v95, v90, v0
	v_mul_f32_e32 v0, v91, v0
	v_fma_f32 v90, v90, v1, -v0
	ds_read2_b64 v[0:3], v75 offset0:80 offset1:205
	s_waitcnt lgkmcnt(0)
	v_mul_f32_e32 v91, v89, v3
	v_mul_f32_e32 v153, v217, v1
	v_fmac_f32_e32 v91, v88, v2
	v_mul_f32_e32 v2, v89, v2
	v_fmac_f32_e32 v153, v216, v0
	v_mul_f32_e32 v0, v217, v0
	v_fma_f32 v88, v88, v3, -v2
	v_fma_f32 v89, v216, v1, -v0
	ds_read2_b64 v[0:3], v240 offset0:68 offset1:193
	s_waitcnt lgkmcnt(0)
	v_mul_f32_e32 v154, v219, v3
	v_mul_f32_e32 v20, v223, v1
	v_fmac_f32_e32 v154, v218, v2
	v_mul_f32_e32 v2, v219, v2
	v_fmac_f32_e32 v20, v222, v0
	v_mul_f32_e32 v0, v223, v0
	v_fma_f32 v155, v218, v3, -v2
	;; [unrolled: 10-line block ×5, first 2 shown]
	ds_read2_b64 v[81:84], v237 offset1:125
	v_fma_f32 v78, v78, v1, -v0
	ds_read2_b64 v[0:3], v254 offset0:110 offset1:235
	s_waitcnt lgkmcnt(0)
	v_mul_f32_e32 v79, v77, v3
	v_mul_f32_e32 v24, v225, v1
	v_fmac_f32_e32 v79, v76, v2
	v_mul_f32_e32 v2, v77, v2
	v_fmac_f32_e32 v24, v224, v0
	v_mul_f32_e32 v0, v225, v0
	v_fma_f32 v76, v76, v3, -v2
	v_fma_f32 v25, v224, v1, -v0
	ds_read2_b64 v[0:3], v255 offset0:98 offset1:223
	s_waitcnt lgkmcnt(0)
	v_mul_f32_e32 v26, v227, v3
	v_mul_f32_e32 v28, v231, v1
	v_fmac_f32_e32 v26, v226, v2
	v_mul_f32_e32 v2, v227, v2
	v_fmac_f32_e32 v28, v230, v0
	v_mul_f32_e32 v0, v231, v0
	v_fma_f32 v27, v226, v3, -v2
	ds_read2_b64 v[2:5], v234 offset0:116 offset1:241
	v_fma_f32 v29, v230, v1, -v0
	v_sub_f32_e32 v1, v20, v22
	v_sub_f32_e32 v37, v28, v22
	v_sub_f32_e32 v35, v29, v23
	s_waitcnt lgkmcnt(0)
	v_mul_f32_e32 v30, v229, v5
	v_mul_f32_e32 v0, v229, v4
	v_fmac_f32_e32 v30, v228, v4
	v_fma_f32 v31, v228, v5, -v0
	v_add_f32_e32 v4, v28, v22
	v_add_f32_e32 v5, v29, v23
	v_sub_f32_e32 v0, v30, v28
	v_sub_f32_e32 v34, v31, v21
	v_fma_f32 v16, -0.5, v4, v81
	v_fma_f32 v17, -0.5, v5, v82
	v_sub_f32_e32 v4, v31, v29
	v_sub_f32_e32 v5, v21, v23
	v_add_f32_e32 v32, v0, v1
	v_add_f32_e32 v0, v81, v30
	;; [unrolled: 1-line block ×3, first 2 shown]
	v_sub_f32_e32 v36, v30, v20
	v_add_f32_e32 v33, v4, v5
	ds_read2_b64 v[4:7], v241 offset0:122 offset1:247
	s_waitcnt lgkmcnt(0)
	s_barrier
	buffer_gl0_inv
	buffer_load_dword v38, off, s[20:23], 0 offset:192 ; 4-byte Folded Reload
	v_add_f32_e32 v0, v0, v28
	v_add_f32_e32 v1, v1, v29
	v_fmamk_f32 v18, v34, 0xbf737871, v16
	v_fmamk_f32 v19, v36, 0x3f737871, v17
	v_fmac_f32_e32 v16, 0x3f737871, v34
	v_add_f32_e32 v0, v0, v22
	v_add_f32_e32 v1, v1, v23
	v_fmac_f32_e32 v18, 0xbf167918, v35
	v_fmac_f32_e32 v19, 0x3f167918, v37
	;; [unrolled: 1-line block ×3, first 2 shown]
	v_add_f32_e32 v0, v0, v20
	v_add_f32_e32 v1, v1, v21
	v_fmac_f32_e32 v18, 0x3e9e377a, v32
	v_fmac_f32_e32 v19, 0x3e9e377a, v33
	;; [unrolled: 1-line block ×6, first 2 shown]
	s_waitcnt vmcnt(0)
	ds_write2_b64 v38, v[0:1], v[18:19] offset1:5
	v_sub_f32_e32 v1, v22, v20
	v_add_f32_e32 v18, v30, v20
	v_sub_f32_e32 v20, v29, v31
	buffer_load_dword v29, off, s[20:23], 0 offset:232 ; 4-byte Folded Reload
	v_sub_f32_e32 v0, v28, v30
	ds_write_b64 v38, v[16:17] offset:160
	v_sub_f32_e32 v16, v153, v154
	v_add_f32_e32 v17, v25, v155
	v_sub_f32_e32 v22, v89, v155
	v_add_f32_e32 v19, v0, v1
	v_fma_f32 v0, -0.5, v18, v81
	v_add_f32_e32 v1, v31, v21
	v_sub_f32_e32 v21, v23, v21
	v_sub_f32_e32 v23, v26, v153
	;; [unrolled: 1-line block ×3, first 2 shown]
	v_fmamk_f32 v18, v35, 0x3f737871, v0
	v_fmac_f32_e32 v0, 0xbf737871, v35
	v_fma_f32 v1, -0.5, v1, v82
	v_add_f32_e32 v20, v20, v21
	v_sub_f32_e32 v21, v25, v155
	v_fmac_f32_e32 v18, 0xbf167918, v34
	v_fmac_f32_e32 v0, 0x3f167918, v34
	;; [unrolled: 1-line block ×4, first 2 shown]
	v_fmamk_f32 v19, v37, 0xbf737871, v1
	v_fmac_f32_e32 v1, 0x3f737871, v37
	v_fmac_f32_e32 v19, 0x3f167918, v36
	;; [unrolled: 1-line block ×5, first 2 shown]
	v_sub_f32_e32 v20, v27, v89
	ds_write2_b64 v38, v[18:19], v[0:1] offset0:10 offset1:15
	v_add_f32_e32 v0, v26, v153
	v_add_f32_e32 v1, v24, v154
	v_add_f32_e32 v18, v83, v24
	v_add_f32_e32 v19, v84, v25
	v_fma_f32 v0, -0.5, v0, v83
	v_fma_f32 v83, -0.5, v1, v83
	v_sub_f32_e32 v1, v26, v24
	v_add_f32_e32 v1, v1, v16
	v_fmamk_f32 v16, v20, 0x3f737871, v83
	v_fmac_f32_e32 v83, 0xbf737871, v20
	v_fmac_f32_e32 v16, 0xbf167918, v21
	;; [unrolled: 1-line block ×5, first 2 shown]
	v_add_f32_e32 v1, v27, v89
	v_fma_f32 v1, -0.5, v1, v84
	v_fmac_f32_e32 v84, -0.5, v17
	v_sub_f32_e32 v17, v27, v25
	v_add_f32_e32 v22, v17, v22
	v_fmamk_f32 v17, v23, 0xbf737871, v84
	v_fmac_f32_e32 v84, 0x3f737871, v23
	v_fmac_f32_e32 v17, 0x3f167918, v28
	;; [unrolled: 1-line block ×5, first 2 shown]
	v_sub_f32_e32 v22, v25, v27
	s_waitcnt vmcnt(0)
	ds_write2_b64 v29, v[16:17], v[83:84] offset0:10 offset1:15
	v_add_f32_e32 v16, v18, v26
	v_sub_f32_e32 v18, v24, v26
	buffer_load_dword v26, off, s[20:23], 0 offset:244 ; 4-byte Folded Reload
	v_add_f32_e32 v17, v19, v27
	v_sub_f32_e32 v19, v154, v153
	v_sub_f32_e32 v24, v155, v89
	v_add_f32_e32 v16, v16, v153
	v_add_f32_e32 v17, v17, v89
	;; [unrolled: 1-line block ×3, first 2 shown]
	v_fmamk_f32 v18, v21, 0xbf737871, v0
	v_fmamk_f32 v19, v28, 0x3f737871, v1
	v_fmac_f32_e32 v0, 0x3f737871, v21
	v_fmac_f32_e32 v1, 0xbf737871, v28
	v_add_f32_e32 v22, v22, v24
	v_fmac_f32_e32 v18, 0xbf167918, v20
	v_fmac_f32_e32 v19, 0x3f167918, v23
	;; [unrolled: 1-line block ×4, first 2 shown]
	v_add_f32_e32 v16, v16, v154
	v_add_f32_e32 v17, v17, v155
	v_fmac_f32_e32 v18, 0x3e9e377a, v25
	v_fmac_f32_e32 v19, 0x3e9e377a, v22
	v_fmac_f32_e32 v0, 0x3e9e377a, v25
	v_fmac_f32_e32 v1, 0x3e9e377a, v22
	v_sub_f32_e32 v22, v76, v90
	v_sub_f32_e32 v24, v79, v95
	ds_write2_b64 v29, v[16:17], v[18:19] offset1:5
	v_add_f32_e32 v16, v80, v91
	ds_write_b64 v29, v[0:1] offset:160
	v_sub_f32_e32 v0, v79, v80
	v_sub_f32_e32 v1, v95, v91
	v_add_f32_e32 v17, v78, v88
	v_fma_f32 v16, -0.5, v16, v4
	v_sub_f32_e32 v18, v76, v78
	v_sub_f32_e32 v19, v90, v88
	v_add_f32_e32 v20, v0, v1
	v_add_f32_e32 v0, v4, v79
	;; [unrolled: 1-line block ×3, first 2 shown]
	v_fma_f32 v17, -0.5, v17, v5
	v_add_f32_e32 v21, v18, v19
	v_sub_f32_e32 v23, v78, v88
	v_add_f32_e32 v0, v0, v80
	v_add_f32_e32 v1, v1, v78
	v_fmamk_f32 v18, v22, 0xbf737871, v16
	v_fmamk_f32 v19, v24, 0x3f737871, v17
	v_sub_f32_e32 v25, v80, v91
	v_add_f32_e32 v0, v0, v91
	v_add_f32_e32 v1, v1, v88
	v_fmac_f32_e32 v18, 0xbf167918, v23
	v_fmac_f32_e32 v16, 0x3f737871, v22
	;; [unrolled: 1-line block ×3, first 2 shown]
	v_add_f32_e32 v0, v0, v95
	v_add_f32_e32 v1, v1, v90
	v_fmac_f32_e32 v18, 0x3e9e377a, v20
	v_fmac_f32_e32 v17, 0xbf737871, v24
	;; [unrolled: 1-line block ×6, first 2 shown]
	v_sub_f32_e32 v20, v92, v94
	v_fmac_f32_e32 v17, 0x3e9e377a, v21
	v_sub_f32_e32 v21, v15, v97
	s_waitcnt vmcnt(0)
	ds_write2_b64 v26, v[0:1], v[18:19] offset1:5
	v_sub_f32_e32 v0, v80, v79
	v_sub_f32_e32 v1, v91, v95
	v_add_f32_e32 v18, v79, v95
	ds_write_b64 v26, v[16:17] offset:160
	v_add_f32_e32 v16, v6, v13
	v_sub_f32_e32 v17, v14, v92
	v_add_f32_e32 v19, v0, v1
	v_add_f32_e32 v1, v76, v90
	v_fma_f32 v0, -0.5, v18, v4
	v_sub_f32_e32 v18, v88, v90
	v_fma_f32 v1, -0.5, v1, v5
	v_sub_f32_e32 v5, v78, v76
	v_fmamk_f32 v4, v23, 0x3f737871, v0
	v_fmac_f32_e32 v0, 0xbf737871, v23
	v_add_f32_e32 v18, v5, v18
	v_fmamk_f32 v5, v25, 0xbf737871, v1
	v_fmac_f32_e32 v1, 0x3f737871, v25
	v_fmac_f32_e32 v4, 0xbf167918, v22
	;; [unrolled: 1-line block ×3, first 2 shown]
	v_sub_f32_e32 v22, v13, v93
	v_fmac_f32_e32 v5, 0x3f167918, v24
	v_fmac_f32_e32 v1, 0xbf167918, v24
	;; [unrolled: 1-line block ×4, first 2 shown]
	v_add_f32_e32 v19, v7, v12
	v_fmac_f32_e32 v5, 0x3e9e377a, v18
	v_fmac_f32_e32 v1, 0x3e9e377a, v18
	v_sub_f32_e32 v18, v12, v94
	ds_write2_b64 v26, v[4:5], v[0:1] offset0:10 offset1:15
	v_add_f32_e32 v0, v15, v97
	v_add_f32_e32 v1, v13, v93
	v_sub_f32_e32 v4, v97, v93
	v_add_f32_e32 v5, v12, v94
	v_fma_f32 v0, -0.5, v0, v6
	v_fma_f32 v6, -0.5, v1, v6
	v_sub_f32_e32 v1, v15, v13
	v_add_f32_e32 v1, v1, v4
	v_fmamk_f32 v4, v17, 0x3f737871, v6
	v_fmac_f32_e32 v6, 0xbf737871, v17
	v_fmac_f32_e32 v4, 0xbf167918, v18
	;; [unrolled: 1-line block ×5, first 2 shown]
	v_add_f32_e32 v1, v14, v92
	v_fma_f32 v1, -0.5, v1, v7
	v_fmac_f32_e32 v7, -0.5, v5
	v_sub_f32_e32 v5, v14, v12
	v_sub_f32_e32 v12, v12, v14
	v_add_f32_e32 v20, v5, v20
	v_fmamk_f32 v5, v21, 0xbf737871, v7
	v_fmac_f32_e32 v7, 0x3f737871, v21
	v_fmac_f32_e32 v5, 0x3f167918, v22
	;; [unrolled: 1-line block ×5, first 2 shown]
	buffer_load_dword v20, off, s[20:23], 0 offset:256 ; 4-byte Folded Reload
	s_waitcnt vmcnt(0)
	ds_write2_b64 v20, v[4:5], v[6:7] offset0:10 offset1:15
	v_sub_f32_e32 v6, v13, v15
	v_sub_f32_e32 v7, v93, v97
	v_add_f32_e32 v5, v19, v14
	v_sub_f32_e32 v13, v94, v92
	v_add_f32_e32 v4, v16, v15
	;; [unrolled: 2-line block ×3, first 2 shown]
	v_fmamk_f32 v6, v18, 0xbf737871, v0
	v_fmamk_f32 v7, v22, 0x3f737871, v1
	v_fmac_f32_e32 v0, 0x3f737871, v18
	v_fmac_f32_e32 v1, 0xbf737871, v22
	v_add_f32_e32 v12, v12, v13
	v_add_f32_e32 v4, v4, v97
	;; [unrolled: 1-line block ×3, first 2 shown]
	v_fmac_f32_e32 v0, 0x3f167918, v17
	v_fmac_f32_e32 v1, 0xbf167918, v21
	;; [unrolled: 1-line block ×4, first 2 shown]
	v_add_f32_e32 v4, v4, v93
	v_fmac_f32_e32 v0, 0x3e9e377a, v14
	v_fmac_f32_e32 v1, 0x3e9e377a, v12
	v_add_f32_e32 v5, v5, v94
	v_fmac_f32_e32 v6, 0x3e9e377a, v14
	v_fmac_f32_e32 v7, 0x3e9e377a, v12
	v_sub_f32_e32 v12, v10, v98
	ds_write_b64 v20, v[0:1] offset:160
	v_add_f32_e32 v0, v9, v99
	v_add_f32_e32 v1, v11, v152
	ds_write2_b64 v20, v[4:5], v[6:7] offset1:5
	v_add_f32_e32 v6, v2, v11
	v_sub_f32_e32 v4, v99, v152
	v_fma_f32 v0, -0.5, v0, v2
	v_fma_f32 v2, -0.5, v1, v2
	v_sub_f32_e32 v1, v9, v11
	v_sub_f32_e32 v7, v8, v96
	v_add_f32_e32 v5, v10, v98
	v_add_f32_e32 v13, v3, v10
	v_sub_f32_e32 v14, v96, v98
	v_add_f32_e32 v1, v1, v4
	v_fmamk_f32 v4, v7, 0x3f737871, v2
	v_fmac_f32_e32 v2, 0xbf737871, v7
	v_sub_f32_e32 v16, v11, v152
	v_fmac_f32_e32 v4, 0xbf167918, v12
	v_fmac_f32_e32 v2, 0x3f167918, v12
	;; [unrolled: 1-line block ×4, first 2 shown]
	v_add_f32_e32 v1, v8, v96
	v_fma_f32 v1, -0.5, v1, v3
	v_fmac_f32_e32 v3, -0.5, v5
	v_sub_f32_e32 v5, v8, v10
	v_add_f32_e32 v14, v5, v14
	v_fmamk_f32 v5, v15, 0xbf737871, v3
	v_fmac_f32_e32 v3, 0x3f737871, v15
	v_fmac_f32_e32 v5, 0x3f167918, v16
	;; [unrolled: 1-line block ×5, first 2 shown]
	buffer_load_dword v14, off, s[20:23], 0 offset:252 ; 4-byte Folded Reload
	s_waitcnt vmcnt(0)
	ds_write2_b64 v14, v[4:5], v[2:3] offset0:10 offset1:15
	v_sub_f32_e32 v4, v11, v9
	v_sub_f32_e32 v5, v152, v99
	v_add_f32_e32 v2, v6, v9
	v_add_f32_e32 v3, v13, v8
	v_sub_f32_e32 v6, v10, v8
	v_sub_f32_e32 v8, v98, v96
	v_add_f32_e32 v9, v4, v5
	v_fmamk_f32 v4, v12, 0xbf737871, v0
	v_fmamk_f32 v5, v16, 0x3f737871, v1
	v_fmac_f32_e32 v0, 0x3f737871, v12
	v_fmac_f32_e32 v1, 0xbf737871, v16
	v_add_f32_e32 v2, v2, v99
	v_add_f32_e32 v3, v3, v96
	;; [unrolled: 1-line block ×3, first 2 shown]
	v_fmac_f32_e32 v4, 0xbf167918, v7
	v_fmac_f32_e32 v5, 0x3f167918, v15
	;; [unrolled: 1-line block ×4, first 2 shown]
	v_add_f32_e32 v2, v2, v152
	v_add_f32_e32 v3, v3, v98
	v_fmac_f32_e32 v4, 0x3e9e377a, v9
	v_fmac_f32_e32 v5, 0x3e9e377a, v6
	;; [unrolled: 1-line block ×4, first 2 shown]
	ds_write2_b64 v14, v[2:3], v[4:5] offset1:5
	ds_write_b64 v14, v[0:1] offset:160
	s_waitcnt lgkmcnt(0)
	s_barrier
	buffer_gl0_inv
	ds_read_b64 v[0:1], v237 offset:24000
	ds_read2_b64 v[16:19], v237 offset1:125
	s_waitcnt lgkmcnt(1)
	v_mul_f32_e32 v6, v139, v1
	v_fmac_f32_e32 v6, v138, v0
	v_mul_f32_e32 v0, v139, v0
	v_fma_f32 v7, v138, v1, -v0
	ds_read2_b64 v[0:3], v74 offset0:74 offset1:199
	s_waitcnt lgkmcnt(0)
	v_mul_f32_e32 v9, v137, v3
	v_mul_f32_e32 v15, v133, v1
	v_fmac_f32_e32 v9, v136, v2
	v_mul_f32_e32 v2, v137, v2
	v_fmac_f32_e32 v15, v132, v0
	v_mul_f32_e32 v0, v133, v0
	v_fma_f32 v8, v136, v3, -v2
	v_fma_f32 v14, v132, v1, -v0
	ds_read2_b64 v[0:3], v233 offset0:62 offset1:187
	s_waitcnt lgkmcnt(0)
	v_mul_f32_e32 v76, v135, v3
	v_mul_f32_e32 v83, v131, v1
	v_fmac_f32_e32 v76, v134, v2
	v_mul_f32_e32 v2, v135, v2
	v_fmac_f32_e32 v83, v130, v0
	v_mul_f32_e32 v0, v131, v0
	v_fma_f32 v77, v134, v3, -v2
	;; [unrolled: 10-line block ×9, first 2 shown]
	v_sub_f32_e32 v41, v32, v26
	v_fma_f32 v33, v214, v1, -v0
	ds_read2_b64 v[0:3], v234 offset0:116 offset1:241
	v_sub_f32_e32 v39, v33, v27
	s_waitcnt lgkmcnt(0)
	v_mul_f32_e32 v34, v213, v3
	v_fmac_f32_e32 v34, v212, v2
	v_mul_f32_e32 v2, v213, v2
	v_sub_f32_e32 v40, v34, v24
	v_fma_f32 v35, v212, v3, -v2
	v_sub_f32_e32 v2, v34, v32
	v_sub_f32_e32 v3, v24, v26
	;; [unrolled: 1-line block ×3, first 2 shown]
	v_add_f32_e32 v36, v2, v3
	v_add_f32_e32 v2, v16, v34
	v_add_f32_e32 v3, v17, v35
	v_add_f32_e32 v2, v2, v32
	v_add_f32_e32 v3, v3, v33
	v_add_f32_e32 v2, v2, v26
	v_add_f32_e32 v3, v3, v27
	v_add_f32_e32 v20, v2, v24
	v_add_f32_e32 v21, v3, v25
	v_add_f32_e32 v2, v32, v26
	v_add_f32_e32 v3, v33, v27
	v_fma_f32 v22, -0.5, v2, v16
	v_fma_f32 v23, -0.5, v3, v17
	v_sub_f32_e32 v2, v35, v33
	v_sub_f32_e32 v3, v25, v27
	v_fmamk_f32 v94, v38, 0xbf737871, v22
	v_fmamk_f32 v95, v40, 0x3f737871, v23
	v_fmac_f32_e32 v22, 0x3f737871, v38
	v_add_f32_e32 v37, v2, v3
	ds_read2_b64 v[2:5], v241 offset0:122 offset1:247
	s_waitcnt lgkmcnt(0)
	s_barrier
	buffer_gl0_inv
	buffer_load_dword v42, off, s[20:23], 0 offset:264 ; 4-byte Folded Reload
	v_fmac_f32_e32 v94, 0xbf167918, v39
	v_fmac_f32_e32 v95, 0x3f167918, v41
	;; [unrolled: 1-line block ×9, first 2 shown]
	s_waitcnt vmcnt(0)
	ds_write2_b64 v42, v[20:21], v[94:95] offset1:25
	v_sub_f32_e32 v21, v26, v24
	v_add_f32_e32 v24, v34, v24
	v_sub_f32_e32 v20, v32, v34
	ds_write_b64 v42, v[22:23] offset:800
	v_add_f32_e32 v22, v18, v28
	v_sub_f32_e32 v23, v31, v90
	v_fma_f32 v16, -0.5, v24, v16
	v_sub_f32_e32 v24, v33, v35
	buffer_load_dword v33, off, s[20:23], 0 offset:272 ; 4-byte Folded Reload
	v_add_f32_e32 v21, v20, v21
	v_add_f32_e32 v20, v35, v25
	v_sub_f32_e32 v25, v27, v25
	v_sub_f32_e32 v26, v90, v93
	;; [unrolled: 1-line block ×4, first 2 shown]
	v_fma_f32 v17, -0.5, v20, v17
	v_fmamk_f32 v20, v39, 0x3f737871, v16
	v_fmac_f32_e32 v16, 0xbf737871, v39
	v_add_f32_e32 v24, v24, v25
	v_add_f32_e32 v25, v19, v29
	v_fmac_f32_e32 v20, 0xbf167918, v38
	v_fmac_f32_e32 v16, 0x3f167918, v38
	;; [unrolled: 1-line block ×4, first 2 shown]
	v_fmamk_f32 v21, v41, 0xbf737871, v17
	v_fmac_f32_e32 v17, 0x3f737871, v41
	v_fmac_f32_e32 v21, 0x3f167918, v40
	;; [unrolled: 1-line block ×5, first 2 shown]
	v_sub_f32_e32 v24, v29, v93
	ds_write2_b64 v42, v[20:21], v[16:17] offset0:50 offset1:75
	v_add_f32_e32 v16, v30, v91
	v_add_f32_e32 v17, v28, v92
	v_sub_f32_e32 v20, v91, v92
	v_add_f32_e32 v21, v29, v93
	v_fma_f32 v16, -0.5, v16, v18
	v_fma_f32 v18, -0.5, v17, v18
	v_sub_f32_e32 v17, v30, v28
	v_add_f32_e32 v17, v17, v20
	v_fmamk_f32 v20, v23, 0x3f737871, v18
	v_fmac_f32_e32 v18, 0xbf737871, v23
	v_fmac_f32_e32 v20, 0xbf167918, v24
	;; [unrolled: 1-line block ×5, first 2 shown]
	v_add_f32_e32 v17, v31, v90
	v_fma_f32 v17, -0.5, v17, v19
	v_fmac_f32_e32 v19, -0.5, v21
	v_sub_f32_e32 v21, v31, v29
	v_add_f32_e32 v26, v21, v26
	v_fmamk_f32 v21, v27, 0xbf737871, v19
	v_fmac_f32_e32 v19, 0x3f737871, v27
	v_fmac_f32_e32 v21, 0x3f167918, v32
	;; [unrolled: 1-line block ×5, first 2 shown]
	s_waitcnt vmcnt(0)
	ds_write2_b64 v33, v[20:21], v[18:19] offset0:50 offset1:75
	v_add_f32_e32 v18, v22, v30
	v_sub_f32_e32 v22, v29, v31
	buffer_load_dword v29, off, s[20:23], 0 offset:248 ; 4-byte Folded Reload
	v_sub_f32_e32 v20, v28, v30
	v_sub_f32_e32 v21, v92, v91
	v_add_f32_e32 v19, v25, v31
	v_sub_f32_e32 v25, v93, v90
	v_add_f32_e32 v18, v18, v91
	;; [unrolled: 2-line block ×3, first 2 shown]
	v_fmamk_f32 v20, v24, 0xbf737871, v16
	v_fmamk_f32 v21, v32, 0x3f737871, v17
	v_fmac_f32_e32 v16, 0x3f737871, v24
	v_fmac_f32_e32 v17, 0xbf737871, v32
	v_add_f32_e32 v19, v19, v90
	v_add_f32_e32 v22, v22, v25
	v_fmac_f32_e32 v20, 0xbf167918, v23
	v_fmac_f32_e32 v21, 0x3f167918, v27
	;; [unrolled: 1-line block ×4, first 2 shown]
	v_add_f32_e32 v18, v18, v92
	v_add_f32_e32 v19, v19, v93
	v_fmac_f32_e32 v20, 0x3e9e377a, v26
	v_fmac_f32_e32 v21, 0x3e9e377a, v22
	;; [unrolled: 1-line block ×4, first 2 shown]
	v_sub_f32_e32 v24, v89, v82
	v_sub_f32_e32 v26, v88, v83
	ds_write2_b64 v33, v[18:19], v[20:21] offset1:25
	v_add_f32_e32 v18, v87, v85
	ds_write_b64 v33, v[16:17] offset:800
	v_sub_f32_e32 v16, v88, v87
	v_sub_f32_e32 v17, v83, v85
	v_add_f32_e32 v19, v86, v84
	v_fma_f32 v18, -0.5, v18, v2
	v_sub_f32_e32 v20, v89, v86
	v_sub_f32_e32 v21, v82, v84
	v_add_f32_e32 v22, v16, v17
	v_add_f32_e32 v16, v2, v88
	;; [unrolled: 1-line block ×3, first 2 shown]
	v_fma_f32 v19, -0.5, v19, v3
	v_add_f32_e32 v23, v20, v21
	v_sub_f32_e32 v25, v86, v84
	v_add_f32_e32 v16, v16, v87
	v_add_f32_e32 v17, v17, v86
	v_fmamk_f32 v20, v24, 0xbf737871, v18
	v_fmamk_f32 v21, v26, 0x3f737871, v19
	v_sub_f32_e32 v27, v87, v85
	v_add_f32_e32 v16, v16, v85
	v_add_f32_e32 v17, v17, v84
	v_fmac_f32_e32 v20, 0xbf167918, v25
	v_fmac_f32_e32 v18, 0x3f737871, v24
	;; [unrolled: 1-line block ×3, first 2 shown]
	v_add_f32_e32 v16, v16, v83
	v_add_f32_e32 v17, v17, v82
	v_fmac_f32_e32 v20, 0x3e9e377a, v22
	v_fmac_f32_e32 v19, 0xbf737871, v26
	;; [unrolled: 1-line block ×6, first 2 shown]
	v_sub_f32_e32 v22, v78, v77
	v_fmac_f32_e32 v19, 0x3e9e377a, v23
	v_sub_f32_e32 v23, v81, v15
	s_waitcnt vmcnt(0)
	ds_write2_b64 v29, v[16:17], v[20:21] offset1:25
	v_sub_f32_e32 v16, v87, v88
	v_sub_f32_e32 v17, v85, v83
	v_add_f32_e32 v20, v88, v83
	v_add_f32_e32 v21, v89, v82
	ds_write_b64 v29, v[18:19] offset:800
	v_add_f32_e32 v18, v4, v79
	v_add_f32_e32 v17, v16, v17
	v_sub_f32_e32 v16, v86, v89
	v_fma_f32 v2, -0.5, v20, v2
	v_fma_f32 v3, -0.5, v21, v3
	v_add_f32_e32 v19, v5, v78
	v_sub_f32_e32 v21, v80, v14
	v_add_f32_e32 v20, v16, v28
	v_fmamk_f32 v16, v25, 0x3f737871, v2
	v_fmac_f32_e32 v2, 0xbf737871, v25
	v_fmac_f32_e32 v16, 0xbf167918, v24
	;; [unrolled: 1-line block ×3, first 2 shown]
	v_sub_f32_e32 v24, v79, v76
	v_fmac_f32_e32 v16, 0x3e9e377a, v17
	v_fmac_f32_e32 v2, 0x3e9e377a, v17
	v_fmamk_f32 v17, v27, 0xbf737871, v3
	v_fmac_f32_e32 v3, 0x3f737871, v27
	v_fmac_f32_e32 v17, 0x3f167918, v26
	;; [unrolled: 1-line block ×5, first 2 shown]
	v_sub_f32_e32 v20, v14, v77
	ds_write2_b64 v29, v[16:17], v[2:3] offset0:50 offset1:75
	v_add_f32_e32 v2, v81, v15
	v_add_f32_e32 v3, v79, v76
	v_sub_f32_e32 v16, v15, v76
	v_fma_f32 v2, -0.5, v2, v4
	v_fma_f32 v4, -0.5, v3, v4
	v_sub_f32_e32 v3, v81, v79
	v_add_f32_e32 v17, v3, v16
	v_add_f32_e32 v3, v80, v14
	;; [unrolled: 1-line block ×3, first 2 shown]
	v_fma_f32 v3, -0.5, v3, v5
	v_fmac_f32_e32 v5, -0.5, v16
	v_sub_f32_e32 v16, v80, v78
	v_add_f32_e32 v20, v16, v20
	v_fmamk_f32 v16, v21, 0x3f737871, v4
	v_fmac_f32_e32 v4, 0xbf737871, v21
	v_fmac_f32_e32 v16, 0xbf167918, v22
	;; [unrolled: 1-line block ×5, first 2 shown]
	v_fmamk_f32 v17, v23, 0xbf737871, v5
	v_fmac_f32_e32 v5, 0x3f737871, v23
	v_fmac_f32_e32 v17, 0x3f167918, v24
	;; [unrolled: 1-line block ×5, first 2 shown]
	buffer_load_dword v20, off, s[20:23], 0 offset:260 ; 4-byte Folded Reload
	s_waitcnt vmcnt(0)
	ds_write2_b64 v20, v[16:17], v[4:5] offset0:50 offset1:75
	v_add_f32_e32 v4, v18, v81
	v_add_f32_e32 v5, v19, v80
	v_sub_f32_e32 v16, v79, v81
	v_sub_f32_e32 v17, v78, v80
	;; [unrolled: 1-line block ×3, first 2 shown]
	v_add_f32_e32 v4, v4, v15
	v_add_f32_e32 v5, v5, v14
	v_sub_f32_e32 v15, v76, v15
	v_sub_f32_e32 v14, v77, v14
	;; [unrolled: 1-line block ×3, first 2 shown]
	v_add_f32_e32 v4, v4, v76
	v_add_f32_e32 v5, v5, v77
	;; [unrolled: 1-line block ×4, first 2 shown]
	v_fmamk_f32 v14, v22, 0xbf737871, v2
	v_fmamk_f32 v15, v24, 0x3f737871, v3
	v_fmac_f32_e32 v2, 0x3f737871, v22
	v_fmac_f32_e32 v3, 0xbf737871, v24
	;; [unrolled: 1-line block ×10, first 2 shown]
	v_sub_f32_e32 v16, v8, v7
	v_sub_f32_e32 v17, v10, v8
	ds_write2_b64 v20, v[4:5], v[14:15] offset1:25
	v_add_f32_e32 v14, v0, v13
	ds_write_b64 v20, v[2:3] offset:800
	v_add_f32_e32 v2, v11, v9
	v_add_f32_e32 v3, v13, v6
	v_sub_f32_e32 v4, v9, v6
	v_add_f32_e32 v15, v1, v12
	v_sub_f32_e32 v20, v13, v6
	v_fma_f32 v2, -0.5, v2, v0
	v_fma_f32 v0, -0.5, v3, v0
	v_sub_f32_e32 v3, v11, v13
	v_add_f32_e32 v5, v3, v4
	v_add_f32_e32 v3, v10, v8
	;; [unrolled: 1-line block ×3, first 2 shown]
	v_fma_f32 v3, -0.5, v3, v1
	v_fmac_f32_e32 v1, -0.5, v4
	v_sub_f32_e32 v4, v10, v12
	v_add_f32_e32 v16, v4, v16
	v_fmamk_f32 v4, v17, 0x3f737871, v0
	v_fmac_f32_e32 v0, 0xbf737871, v17
	v_fmac_f32_e32 v4, 0xbf167918, v18
	v_fmac_f32_e32 v0, 0x3f167918, v18
	v_fmac_f32_e32 v4, 0x3e9e377a, v5
	v_fmac_f32_e32 v0, 0x3e9e377a, v5
	v_fmamk_f32 v5, v19, 0xbf737871, v1
	v_fmac_f32_e32 v1, 0x3f737871, v19
	v_fmac_f32_e32 v5, 0x3f167918, v20
	;; [unrolled: 1-line block ×5, first 2 shown]
	buffer_load_dword v16, off, s[20:23], 0 offset:268 ; 4-byte Folded Reload
	s_waitcnt vmcnt(0)
	ds_write2_b64 v16, v[4:5], v[0:1] offset0:50 offset1:75
	v_add_f32_e32 v0, v14, v11
	v_add_f32_e32 v1, v15, v10
	v_sub_f32_e32 v4, v13, v11
	v_sub_f32_e32 v5, v6, v9
	v_add_f32_e32 v0, v0, v9
	v_add_f32_e32 v1, v1, v8
	;; [unrolled: 1-line block ×4, first 2 shown]
	v_sub_f32_e32 v6, v12, v10
	v_sub_f32_e32 v7, v7, v8
	v_add_f32_e32 v8, v4, v5
	v_fmamk_f32 v4, v18, 0xbf737871, v2
	v_fmamk_f32 v5, v20, 0x3f737871, v3
	v_fmac_f32_e32 v2, 0x3f737871, v18
	v_fmac_f32_e32 v3, 0xbf737871, v20
	v_add_f32_e32 v6, v6, v7
	v_fmac_f32_e32 v4, 0xbf167918, v17
	v_fmac_f32_e32 v5, 0x3f167918, v19
	;; [unrolled: 1-line block ×8, first 2 shown]
	ds_write2_b64 v16, v[0:1], v[4:5] offset1:25
	ds_write_b64 v16, v[2:3] offset:800
	s_waitcnt lgkmcnt(0)
	s_barrier
	buffer_gl0_inv
	ds_read2_b64 v[0:3], v255 offset0:98 offset1:223
	ds_read2_b64 v[6:9], v237 offset1:125
	s_waitcnt lgkmcnt(1)
	v_mul_f32_e32 v80, v73, v1
	v_mul_f32_e32 v76, v73, v3
	v_fmac_f32_e32 v80, v72, v0
	v_mul_f32_e32 v0, v73, v0
	v_fmac_f32_e32 v76, v72, v2
	v_fma_f32 v81, v72, v1, -v0
	v_mul_f32_e32 v0, v73, v2
	v_fma_f32 v77, v72, v3, -v0
	ds_read2_b64 v[0:3], v240 offset0:68 offset1:193
	s_waitcnt lgkmcnt(0)
	v_mul_f32_e32 v82, v47, v1
	v_mul_f32_e32 v78, v47, v3
	v_fmac_f32_e32 v82, v46, v0
	v_mul_f32_e32 v0, v47, v0
	v_fmac_f32_e32 v78, v46, v2
	v_fma_f32 v83, v46, v1, -v0
	v_mul_f32_e32 v0, v47, v2
	v_fma_f32 v79, v46, v3, -v0
	ds_read_b64 v[0:1], v237 offset:24000
	s_waitcnt lgkmcnt(0)
	v_mul_f32_e32 v12, v245, v1
	v_fmac_f32_e32 v12, v244, v0
	v_mul_f32_e32 v0, v245, v0
	v_fma_f32 v13, v244, v1, -v0
	ds_read2_b64 v[0:3], v74 offset0:74 offset1:199
	s_waitcnt lgkmcnt(0)
	v_mul_f32_e32 v14, v243, v3
	v_mul_f32_e32 v16, v53, v1
	v_fmac_f32_e32 v14, v242, v2
	v_mul_f32_e32 v2, v243, v2
	v_fmac_f32_e32 v16, v52, v0
	v_mul_f32_e32 v0, v53, v0
	v_fma_f32 v15, v242, v3, -v2
	v_fma_f32 v17, v52, v1, -v0
	ds_read2_b64 v[0:3], v233 offset0:62 offset1:187
	s_waitcnt lgkmcnt(0)
	v_mul_f32_e32 v18, v55, v3
	v_mul_f32_e32 v46, v67, v1
	v_fmac_f32_e32 v18, v54, v2
	v_mul_f32_e32 v2, v55, v2
	v_fmac_f32_e32 v46, v66, v0
	v_mul_f32_e32 v0, v67, v0
	v_fma_f32 v19, v54, v3, -v2
	v_fma_f32 v47, v66, v1, -v0
	ds_read2_b64 v[0:3], v75 offset0:80 offset1:205
	s_waitcnt lgkmcnt(0)
	v_mul_f32_e32 v66, v65, v3
	v_fmac_f32_e32 v66, v64, v2
	v_mul_f32_e32 v2, v65, v2
	v_mul_f32_e32 v65, v45, v1
	v_fma_f32 v64, v64, v3, -v2
	v_fmac_f32_e32 v65, v44, v0
	v_mul_f32_e32 v0, v45, v0
	v_fma_f32 v67, v44, v1, -v0
	ds_read2_b64 v[0:3], v239 offset0:86 offset1:211
	s_waitcnt lgkmcnt(0)
	v_mul_f32_e32 v69, v45, v3
	v_mul_f32_e32 v30, v63, v1
	v_fmac_f32_e32 v69, v44, v2
	v_mul_f32_e32 v2, v45, v2
	v_fmac_f32_e32 v30, v62, v0
	v_mul_f32_e32 v0, v63, v0
	v_sub_f32_e32 v27, v80, v69
	v_fma_f32 v68, v44, v3, -v2
	v_fma_f32 v31, v62, v1, -v0
	ds_read2_b64 v[0:3], v232 offset0:104 offset1:229
	v_sub_f32_e32 v25, v81, v68
	s_waitcnt lgkmcnt(0)
	v_mul_f32_e32 v44, v61, v3
	v_fmac_f32_e32 v44, v60, v2
	v_mul_f32_e32 v2, v61, v2
	v_fma_f32 v45, v60, v3, -v2
	v_mul_f32_e32 v60, v57, v1
	v_fmac_f32_e32 v60, v56, v0
	v_mul_f32_e32 v0, v57, v0
	v_sub_f32_e32 v33, v60, v18
	v_fma_f32 v56, v56, v1, -v0
	ds_read2_b64 v[0:3], v238 offset0:92 offset1:217
	s_waitcnt lgkmcnt(0)
	v_mul_f32_e32 v57, v59, v3
	v_fmac_f32_e32 v57, v58, v2
	v_mul_f32_e32 v2, v59, v2
	v_mul_f32_e32 v59, v187, v1
	v_sub_f32_e32 v32, v57, v16
	v_fma_f32 v58, v58, v3, -v2
	v_fmac_f32_e32 v59, v186, v0
	v_mul_f32_e32 v0, v187, v0
	v_sub_f32_e32 v39, v59, v66
	v_fma_f32 v54, v186, v1, -v0
	ds_read2_b64 v[0:3], v254 offset0:110 offset1:235
	v_sub_f32_e32 v37, v54, v64
	s_waitcnt lgkmcnt(0)
	v_mul_f32_e32 v55, v185, v3
	v_mul_f32_e32 v53, v71, v1
	v_fmac_f32_e32 v55, v184, v2
	v_mul_f32_e32 v2, v185, v2
	v_fmac_f32_e32 v53, v70, v0
	v_mul_f32_e32 v0, v71, v0
	v_sub_f32_e32 v38, v55, v46
	v_fma_f32 v52, v184, v3, -v2
	v_fma_f32 v61, v70, v1, -v0
	ds_read2_b64 v[0:3], v234 offset0:116 offset1:241
	v_sub_f32_e32 v36, v52, v47
	s_waitcnt lgkmcnt(0)
	v_mul_f32_e32 v62, v71, v3
	v_fmac_f32_e32 v62, v70, v2
	v_mul_f32_e32 v2, v71, v2
	v_sub_f32_e32 v26, v62, v82
	v_fma_f32 v29, v70, v3, -v2
	v_sub_f32_e32 v2, v62, v80
	v_sub_f32_e32 v3, v82, v69
	v_sub_f32_e32 v24, v29, v83
	v_add_f32_e32 v28, v2, v3
	v_add_f32_e32 v2, v80, v69
	;; [unrolled: 1-line block ×3, first 2 shown]
	v_fma_f32 v10, -0.5, v2, v6
	v_fma_f32 v11, -0.5, v3, v7
	v_add_f32_e32 v2, v6, v62
	v_add_f32_e32 v3, v7, v29
	v_fmamk_f32 v22, v24, 0xbf737871, v10
	v_fmamk_f32 v23, v26, 0x3f737871, v11
	v_add_f32_e32 v2, v2, v80
	v_add_f32_e32 v3, v3, v81
	v_fmac_f32_e32 v10, 0x3f737871, v24
	v_fmac_f32_e32 v22, 0xbf167918, v25
	;; [unrolled: 1-line block ×3, first 2 shown]
	v_add_f32_e32 v2, v2, v69
	v_add_f32_e32 v3, v3, v68
	v_fmac_f32_e32 v11, 0xbf737871, v26
	v_fmac_f32_e32 v22, 0x3e9e377a, v28
	;; [unrolled: 1-line block ×3, first 2 shown]
	v_add_f32_e32 v20, v2, v82
	v_add_f32_e32 v21, v3, v83
	v_sub_f32_e32 v2, v29, v81
	v_sub_f32_e32 v3, v83, v68
	v_fmac_f32_e32 v11, 0xbf167918, v27
	v_fmac_f32_e32 v10, 0x3e9e377a, v28
	v_sub_f32_e32 v28, v76, v65
	v_add_f32_e32 v63, v2, v3
	ds_read2_b64 v[2:5], v241 offset0:122 offset1:247
	s_waitcnt lgkmcnt(0)
	s_barrier
	buffer_gl0_inv
	v_fmac_f32_e32 v23, 0x3e9e377a, v63
	v_fmac_f32_e32 v11, 0x3e9e377a, v63
	buffer_load_dword v40, off, s[20:23], 0 offset:204 ; 4-byte Folded Reload
	ds_write2_b64 v237, v[20:21], v[22:23] offset1:125
	v_sub_f32_e32 v20, v80, v62
	v_sub_f32_e32 v21, v69, v82
	v_add_f32_e32 v22, v62, v82
	v_sub_f32_e32 v23, v68, v83
	v_add_f32_e32 v21, v20, v21
	v_add_f32_e32 v20, v29, v83
	v_fma_f32 v6, -0.5, v22, v6
	v_sub_f32_e32 v22, v81, v29
	v_fma_f32 v7, -0.5, v20, v7
	v_fmamk_f32 v20, v25, 0x3f737871, v6
	v_fmac_f32_e32 v6, 0xbf737871, v25
	v_add_f32_e32 v22, v22, v23
	v_sub_f32_e32 v25, v61, v79
	v_fmac_f32_e32 v20, 0xbf167918, v24
	v_fmac_f32_e32 v6, 0x3f167918, v24
	v_sub_f32_e32 v24, v77, v67
	v_fmac_f32_e32 v20, 0x3e9e377a, v21
	v_fmac_f32_e32 v6, 0x3e9e377a, v21
	v_fmamk_f32 v21, v27, 0xbf737871, v7
	v_fmac_f32_e32 v7, 0x3f737871, v27
	v_sub_f32_e32 v27, v53, v78
	v_fmac_f32_e32 v21, 0x3f167918, v26
	v_fmac_f32_e32 v7, 0xbf167918, v26
	v_sub_f32_e32 v26, v67, v79
	v_fmac_f32_e32 v21, 0x3e9e377a, v22
	v_fmac_f32_e32 v7, 0x3e9e377a, v22
	ds_write2_b64 v241, v[20:21], v[6:7] offset0:122 offset1:247
	v_add_f32_e32 v6, v8, v53
	v_add_f32_e32 v7, v9, v61
	;; [unrolled: 1-line block ×3, first 2 shown]
	v_sub_f32_e32 v21, v79, v67
	v_add_f32_e32 v6, v6, v76
	v_add_f32_e32 v7, v7, v77
	;; [unrolled: 1-line block ×6, first 2 shown]
	ds_write2_b64 v234, v[10:11], v[6:7] offset0:116 offset1:241
	v_sub_f32_e32 v6, v53, v76
	v_sub_f32_e32 v7, v78, v65
	;; [unrolled: 1-line block ×4, first 2 shown]
	v_add_f32_e32 v22, v6, v7
	v_add_f32_e32 v6, v76, v65
	;; [unrolled: 1-line block ×4, first 2 shown]
	v_fma_f32 v6, -0.5, v6, v8
	v_fma_f32 v8, -0.5, v7, v8
	v_sub_f32_e32 v7, v76, v53
	v_add_f32_e32 v23, v7, v10
	v_add_f32_e32 v7, v77, v67
	v_sub_f32_e32 v10, v61, v77
	v_fma_f32 v7, -0.5, v7, v9
	v_fmac_f32_e32 v9, -0.5, v20
	v_add_f32_e32 v29, v10, v21
	v_fmamk_f32 v10, v25, 0xbf737871, v6
	v_fmac_f32_e32 v6, 0x3f737871, v25
	v_fmamk_f32 v20, v24, 0x3f737871, v8
	v_fmac_f32_e32 v8, 0xbf737871, v24
	;; [unrolled: 2-line block ×4, first 2 shown]
	v_fmac_f32_e32 v6, 0x3f167918, v24
	v_fmac_f32_e32 v8, 0x3f167918, v25
	;; [unrolled: 1-line block ×14, first 2 shown]
	ds_write2_b64 v232, v[8:9], v[6:7] offset0:104 offset1:229
	v_fmac_f32_e32 v11, 0x3e9e377a, v29
	v_fmac_f32_e32 v21, 0x3e9e377a, v26
	v_add_f32_e32 v6, v30, v14
	v_add_f32_e32 v7, v44, v12
	v_sub_f32_e32 v8, v30, v44
	v_sub_f32_e32 v9, v14, v12
	ds_write2_b64 v254, v[10:11], v[20:21] offset0:110 offset1:235
	v_add_f32_e32 v20, v0, v44
	v_fma_f32 v6, -0.5, v6, v0
	v_fma_f32 v0, -0.5, v7, v0
	v_sub_f32_e32 v21, v31, v15
	v_add_f32_e32 v9, v8, v9
	v_sub_f32_e32 v22, v45, v13
	v_add_f32_e32 v7, v31, v15
	v_add_f32_e32 v23, v1, v45
	v_fmamk_f32 v8, v21, 0x3f737871, v0
	v_fmac_f32_e32 v0, 0xbf737871, v21
	v_sub_f32_e32 v10, v15, v13
	v_fma_f32 v7, -0.5, v7, v1
	v_sub_f32_e32 v24, v30, v14
	v_fmac_f32_e32 v8, 0xbf167918, v22
	v_fmac_f32_e32 v0, 0x3f167918, v22
	v_sub_f32_e32 v25, v44, v12
	v_add_f32_e32 v26, v4, v60
	v_sub_f32_e32 v27, v58, v17
	v_fmac_f32_e32 v8, 0x3e9e377a, v9
	v_fmac_f32_e32 v0, 0x3e9e377a, v9
	v_add_f32_e32 v9, v45, v13
	v_sub_f32_e32 v28, v56, v19
	v_add_f32_e32 v29, v5, v56
	v_sub_f32_e32 v11, v46, v66
	v_fmac_f32_e32 v1, -0.5, v9
	v_sub_f32_e32 v9, v31, v45
	v_add_f32_e32 v10, v9, v10
	v_fmamk_f32 v9, v24, 0xbf737871, v1
	v_fmac_f32_e32 v1, 0x3f737871, v24
	v_fmac_f32_e32 v9, 0x3f167918, v25
	;; [unrolled: 1-line block ×5, first 2 shown]
	buffer_load_dword v10, off, s[20:23], 0 offset:196 ; 4-byte Folded Reload
	s_waitcnt vmcnt(0)
	ds_write2_b64 v10, v[8:9], v[0:1] offset0:62 offset1:187
	v_add_f32_e32 v0, v57, v16
	v_add_f32_e32 v1, v60, v18
	v_sub_f32_e32 v8, v16, v18
	v_sub_f32_e32 v10, v17, v19
	v_fma_f32 v0, -0.5, v0, v4
	v_fma_f32 v4, -0.5, v1, v4
	v_sub_f32_e32 v1, v57, v60
	v_add_f32_e32 v9, v1, v8
	v_fmamk_f32 v8, v27, 0x3f737871, v4
	v_fmac_f32_e32 v4, 0xbf737871, v27
	v_add_f32_e32 v1, v58, v17
	v_fmac_f32_e32 v8, 0xbf167918, v28
	v_fmac_f32_e32 v4, 0x3f167918, v28
	v_fma_f32 v1, -0.5, v1, v5
	v_fmac_f32_e32 v8, 0x3e9e377a, v9
	v_fmac_f32_e32 v4, 0x3e9e377a, v9
	v_add_f32_e32 v9, v56, v19
	v_fmac_f32_e32 v5, -0.5, v9
	v_sub_f32_e32 v9, v58, v56
	v_add_f32_e32 v10, v9, v10
	v_fmamk_f32 v9, v32, 0xbf737871, v5
	v_fmac_f32_e32 v5, 0x3f737871, v32
	v_fmac_f32_e32 v9, 0x3f167918, v33
	;; [unrolled: 1-line block ×5, first 2 shown]
	buffer_load_dword v10, off, s[20:23], 0 offset:200 ; 4-byte Folded Reload
	s_waitcnt vmcnt(0)
	ds_write2_b64 v10, v[8:9], v[4:5] offset0:77 offset1:202
	v_add_f32_e32 v4, v59, v66
	v_add_f32_e32 v5, v54, v64
	;; [unrolled: 1-line block ×4, first 2 shown]
	v_sub_f32_e32 v10, v55, v59
	v_fma_f32 v4, -0.5, v4, v2
	v_fma_f32 v5, -0.5, v5, v3
	;; [unrolled: 1-line block ×4, first 2 shown]
	v_add_f32_e32 v2, v2, v55
	v_add_f32_e32 v3, v3, v52
	;; [unrolled: 1-line block ×3, first 2 shown]
	v_sub_f32_e32 v10, v52, v54
	v_sub_f32_e32 v11, v47, v64
	v_add_f32_e32 v2, v2, v59
	v_add_f32_e32 v3, v3, v54
	;; [unrolled: 1-line block ×3, first 2 shown]
	v_fmamk_f32 v10, v36, 0xbf737871, v4
	v_fmamk_f32 v11, v38, 0x3f737871, v5
	v_add_f32_e32 v2, v2, v66
	v_add_f32_e32 v3, v3, v64
	v_fmac_f32_e32 v4, 0x3f737871, v36
	v_fmac_f32_e32 v10, 0xbf167918, v37
	v_fmac_f32_e32 v11, 0x3f167918, v39
	v_add_f32_e32 v2, v2, v46
	v_add_f32_e32 v3, v3, v47
	v_fmac_f32_e32 v5, 0xbf737871, v38
	v_fmac_f32_e32 v10, 0x3e9e377a, v34
	;; [unrolled: 1-line block ×5, first 2 shown]
	ds_write2_b64 v40, v[2:3], v[10:11] offset0:98 offset1:223
	v_sub_f32_e32 v2, v59, v55
	v_sub_f32_e32 v3, v66, v46
	;; [unrolled: 1-line block ×4, first 2 shown]
	v_fmac_f32_e32 v4, 0x3e9e377a, v34
	v_fmac_f32_e32 v5, 0x3e9e377a, v35
	v_add_f32_e32 v3, v2, v3
	v_fmamk_f32 v2, v37, 0x3f737871, v8
	v_fmac_f32_e32 v8, 0xbf737871, v37
	v_add_f32_e32 v10, v10, v11
	v_sub_f32_e32 v11, v19, v17
	v_add_nc_u32_e32 v66, 0x3000, v237
	v_fmac_f32_e32 v2, 0xbf167918, v36
	v_fmac_f32_e32 v8, 0x3f167918, v36
	;; [unrolled: 1-line block ×4, first 2 shown]
	v_fmamk_f32 v3, v39, 0xbf737871, v9
	v_fmac_f32_e32 v9, 0x3f737871, v39
	v_fmac_f32_e32 v3, 0x3f167918, v38
	;; [unrolled: 1-line block ×5, first 2 shown]
	buffer_load_dword v10, off, s[20:23], 0 offset:208 ; 4-byte Folded Reload
	s_waitcnt vmcnt(0)
	ds_write2_b64 v10, v[2:3], v[8:9] offset0:92 offset1:217
	v_add_f32_e32 v2, v26, v57
	v_sub_f32_e32 v10, v18, v16
	v_sub_f32_e32 v8, v60, v57
	;; [unrolled: 1-line block ×3, first 2 shown]
	v_add_f32_e32 v3, v29, v58
	v_add_f32_e32 v2, v2, v16
	buffer_load_dword v16, off, s[20:23], 0 offset:212 ; 4-byte Folded Reload
	v_add_f32_e32 v10, v8, v10
	v_add_f32_e32 v11, v9, v11
	v_fmamk_f32 v8, v28, 0xbf737871, v0
	v_fmamk_f32 v9, v33, 0x3f737871, v1
	v_add_f32_e32 v3, v3, v17
	v_add_f32_e32 v2, v2, v18
	v_fmac_f32_e32 v0, 0x3f737871, v28
	v_fmac_f32_e32 v8, 0xbf167918, v27
	;; [unrolled: 1-line block ×3, first 2 shown]
	v_add_f32_e32 v3, v3, v19
	v_fmac_f32_e32 v1, 0xbf737871, v33
	v_fmac_f32_e32 v0, 0x3f167918, v27
	;; [unrolled: 1-line block ×7, first 2 shown]
	s_waitcnt vmcnt(0)
	ds_write2_b64 v16, v[2:3], v[8:9] offset0:83 offset1:208
	v_add_f32_e32 v2, v20, v30
	v_add_f32_e32 v3, v23, v31
	v_sub_f32_e32 v8, v44, v30
	v_sub_f32_e32 v9, v45, v31
	v_add_f32_e32 v2, v2, v14
	v_add_f32_e32 v3, v3, v15
	v_sub_f32_e32 v14, v12, v14
	v_add_f32_e32 v2, v2, v12
	v_add_f32_e32 v3, v3, v13
	v_sub_f32_e32 v12, v13, v15
	v_add_f32_e32 v13, v8, v14
	buffer_load_dword v14, off, s[20:23], 0 offset:228 ; 4-byte Folded Reload
	v_fmamk_f32 v8, v22, 0xbf737871, v6
	v_fmac_f32_e32 v6, 0x3f737871, v22
	v_add_f32_e32 v12, v9, v12
	v_fmamk_f32 v9, v25, 0x3f737871, v7
	v_fmac_f32_e32 v7, 0xbf737871, v25
	v_fmac_f32_e32 v8, 0xbf167918, v21
	;; [unrolled: 1-line block ×9, first 2 shown]
	s_waitcnt vmcnt(0)
	ds_write2_b64 v14, v[2:3], v[8:9] offset0:68 offset1:193
	buffer_load_dword v2, off, s[20:23], 0 offset:224 ; 4-byte Folded Reload
	s_waitcnt vmcnt(0)
	ds_write_b64 v2, v[4:5] offset:14000
	buffer_load_dword v2, off, s[20:23], 0 offset:220 ; 4-byte Folded Reload
	s_waitcnt vmcnt(0)
	ds_write_b64 v2, v[0:1] offset:19000
	;; [unrolled: 3-line block ×3, first 2 shown]
	s_waitcnt lgkmcnt(0)
	s_barrier
	buffer_gl0_inv
	ds_read_b64 v[0:1], v237 offset:24000
	s_waitcnt lgkmcnt(0)
	v_mul_f32_e32 v8, v151, v1
	v_fmac_f32_e32 v8, v150, v0
	v_mul_f32_e32 v0, v151, v0
	v_fma_f32 v9, v150, v1, -v0
	ds_read2_b64 v[0:3], v74 offset0:74 offset1:199
	s_waitcnt lgkmcnt(0)
	v_mul_f32_e32 v10, v149, v3
	v_mul_f32_e32 v12, v141, v1
	v_fmac_f32_e32 v10, v148, v2
	v_mul_f32_e32 v2, v149, v2
	v_fmac_f32_e32 v12, v140, v0
	v_mul_f32_e32 v0, v141, v0
	v_fma_f32 v11, v148, v3, -v2
	v_fma_f32 v13, v140, v1, -v0
	ds_read2_b64 v[0:3], v233 offset0:62 offset1:187
	s_waitcnt lgkmcnt(0)
	v_mul_f32_e32 v14, v143, v3
	v_mul_f32_e32 v16, v191, v1
	v_fmac_f32_e32 v14, v142, v2
	v_mul_f32_e32 v2, v143, v2
	v_fmac_f32_e32 v16, v190, v0
	v_mul_f32_e32 v0, v191, v0
	v_fma_f32 v15, v142, v3, -v2
	;; [unrolled: 10-line block ×5, first 2 shown]
	v_sub_f32_e32 v64, v28, v10
	v_fma_f32 v29, v146, v1, -v0
	ds_read2_b64 v[0:3], v232 offset0:104 offset1:229
	v_sub_f32_e32 v42, v48, v50
	v_sub_f32_e32 v62, v29, v11
	s_waitcnt lgkmcnt(0)
	v_mul_f32_e32 v36, v145, v3
	v_mul_f32_e32 v38, v125, v1
	v_fmac_f32_e32 v36, v144, v2
	v_mul_f32_e32 v2, v145, v2
	v_fmac_f32_e32 v38, v124, v0
	v_mul_f32_e32 v0, v125, v0
	v_sub_f32_e32 v65, v36, v8
	v_fma_f32 v37, v144, v3, -v2
	v_sub_f32_e32 v61, v38, v14
	v_fma_f32 v39, v124, v1, -v0
	ds_read2_b64 v[0:3], v238 offset0:92 offset1:217
	v_sub_f32_e32 v63, v37, v9
	s_waitcnt lgkmcnt(0)
	v_mul_f32_e32 v30, v127, v3
	v_mul_f32_e32 v32, v195, v1
	v_fmac_f32_e32 v30, v126, v2
	v_mul_f32_e32 v2, v127, v2
	v_fmac_f32_e32 v32, v194, v0
	v_mul_f32_e32 v0, v195, v0
	v_sub_f32_e32 v60, v30, v12
	v_fma_f32 v31, v126, v3, -v2
	v_sub_f32_e32 v58, v32, v18
	v_fma_f32 v33, v194, v1, -v0
	ds_read2_b64 v[0:3], v254 offset0:110 offset1:235
	v_sub_f32_e32 v56, v33, v19
	s_waitcnt lgkmcnt(0)
	v_mul_f32_e32 v34, v193, v3
	v_mul_f32_e32 v40, v205, v1
	v_fmac_f32_e32 v34, v192, v2
	v_mul_f32_e32 v2, v193, v2
	v_fmac_f32_e32 v40, v204, v0
	v_mul_f32_e32 v0, v205, v0
	v_sub_f32_e32 v59, v34, v16
	v_fma_f32 v35, v192, v3, -v2
	v_fma_f32 v24, v204, v1, -v0
	ds_read2_b64 v[0:3], v255 offset0:98 offset1:223
	v_sub_f32_e32 v57, v35, v17
	s_waitcnt lgkmcnt(0)
	v_mul_f32_e32 v25, v207, v3
	v_mul_f32_e32 v27, v211, v1
	v_fmac_f32_e32 v25, v206, v2
	v_mul_f32_e32 v2, v207, v2
	v_fmac_f32_e32 v27, v210, v0
	v_mul_f32_e32 v0, v211, v0
	v_fma_f32 v26, v206, v3, -v2
	v_add_f32_e32 v6, v27, v51
	v_fma_f32 v22, v210, v1, -v0
	ds_read2_b64 v[0:3], v234 offset0:116 offset1:241
	v_sub_f32_e32 v53, v27, v51
	v_add_f32_e32 v7, v22, v50
	s_waitcnt lgkmcnt(0)
	v_mul_f32_e32 v23, v209, v3
	v_fmac_f32_e32 v23, v208, v2
	v_mul_f32_e32 v2, v209, v2
	v_sub_f32_e32 v52, v23, v49
	v_fma_f32 v21, v208, v3, -v2
	v_sub_f32_e32 v2, v23, v27
	v_sub_f32_e32 v3, v49, v51
	;; [unrolled: 1-line block ×4, first 2 shown]
	v_add_f32_e32 v20, v2, v3
	ds_read2_b64 v[2:5], v237 offset1:125
	v_add_f32_e32 v41, v41, v42
	v_sub_f32_e32 v42, v22, v50
	s_waitcnt lgkmcnt(0)
	v_fma_f32 v6, -0.5, v6, v2
	v_fma_f32 v7, -0.5, v7, v3
	v_fmamk_f32 v54, v43, 0xbf737871, v6
	v_fmamk_f32 v55, v52, 0x3f737871, v7
	v_fmac_f32_e32 v6, 0x3f737871, v43
	v_fmac_f32_e32 v7, 0xbf737871, v52
	;; [unrolled: 1-line block ×10, first 2 shown]
	v_sub_f32_e32 v41, v33, v35
	ds_write_b64 v237, v[54:55] offset:5000
	v_add_f32_e32 v55, v3, v21
	v_add_f32_e32 v54, v2, v23
	ds_write_b64 v237, v[6:7] offset:20000
	v_sub_f32_e32 v6, v44, v46
	v_sub_f32_e32 v7, v45, v47
	v_add_f32_e32 v55, v55, v22
	v_add_f32_e32 v54, v54, v27
	v_sub_f32_e32 v27, v27, v23
	v_add_f32_e32 v23, v23, v49
	v_sub_f32_e32 v22, v22, v21
	v_add_f32_e32 v55, v55, v50
	v_add_f32_e32 v21, v21, v48
	;; [unrolled: 1-line block ×3, first 2 shown]
	v_sub_f32_e32 v51, v51, v49
	v_fma_f32 v2, -0.5, v23, v2
	v_add_f32_e32 v55, v55, v48
	v_sub_f32_e32 v48, v50, v48
	v_fma_f32 v3, -0.5, v21, v3
	v_add_f32_e32 v23, v27, v51
	v_fmamk_f32 v21, v42, 0x3f737871, v2
	v_fmac_f32_e32 v2, 0xbf737871, v42
	v_add_f32_e32 v27, v22, v48
	v_fmamk_f32 v22, v53, 0xbf737871, v3
	v_fmac_f32_e32 v3, 0x3f737871, v53
	v_fmac_f32_e32 v21, 0xbf167918, v43
	;; [unrolled: 1-line block ×3, first 2 shown]
	v_add_f32_e32 v54, v54, v49
	v_fmac_f32_e32 v22, 0x3f167918, v52
	v_fmac_f32_e32 v3, 0xbf167918, v52
	;; [unrolled: 1-line block ×4, first 2 shown]
	v_sub_f32_e32 v42, v19, v17
	v_fmac_f32_e32 v22, 0x3e9e377a, v27
	v_fmac_f32_e32 v3, 0x3e9e377a, v27
	v_sub_f32_e32 v52, v26, v45
	v_sub_f32_e32 v53, v24, v47
	v_add_f32_e32 v51, v41, v42
	ds_write_b64 v237, v[21:22] offset:10000
	ds_write_b64 v237, v[2:3] offset:15000
	v_add_f32_e32 v2, v4, v40
	v_add_f32_e32 v3, v5, v24
	ds_read2_b64 v[20:23], v241 offset0:122 offset1:247
	v_add_f32_e32 v2, v2, v25
	v_add_f32_e32 v3, v3, v26
	;; [unrolled: 1-line block ×6, first 2 shown]
	ds_write2_b64 v237, v[54:55], v[2:3] offset1:125
	v_add_f32_e32 v2, v25, v44
	v_add_f32_e32 v3, v40, v46
	v_sub_f32_e32 v54, v25, v44
	v_sub_f32_e32 v55, v40, v46
	v_fma_f32 v2, -0.5, v2, v4
	v_fma_f32 v4, -0.5, v3, v4
	v_sub_f32_e32 v3, v25, v40
	v_fmamk_f32 v41, v52, 0x3f737871, v4
	v_add_f32_e32 v27, v3, v6
	v_add_f32_e32 v3, v26, v45
	;; [unrolled: 1-line block ×3, first 2 shown]
	v_fmac_f32_e32 v4, 0xbf737871, v52
	v_fmac_f32_e32 v41, 0xbf167918, v53
	v_fma_f32 v3, -0.5, v3, v5
	v_fmac_f32_e32 v5, -0.5, v6
	v_sub_f32_e32 v6, v26, v24
	v_fmac_f32_e32 v4, 0x3f167918, v53
	v_fmac_f32_e32 v41, 0x3e9e377a, v27
	v_fmamk_f32 v42, v54, 0xbf737871, v5
	v_add_f32_e32 v43, v6, v7
	v_sub_f32_e32 v6, v32, v34
	v_sub_f32_e32 v7, v18, v16
	v_fmac_f32_e32 v5, 0x3f737871, v54
	v_fmac_f32_e32 v4, 0x3e9e377a, v27
	;; [unrolled: 1-line block ×3, first 2 shown]
	v_sub_f32_e32 v27, v17, v19
	v_add_f32_e32 v50, v6, v7
	v_add_f32_e32 v6, v34, v16
	;; [unrolled: 1-line block ×3, first 2 shown]
	v_fmac_f32_e32 v5, 0xbf167918, v55
	v_fmac_f32_e32 v42, 0x3e9e377a, v43
	s_waitcnt lgkmcnt(1)
	v_fma_f32 v6, -0.5, v6, v20
	v_fma_f32 v7, -0.5, v7, v21
	v_fmac_f32_e32 v5, 0x3e9e377a, v43
	v_fmamk_f32 v48, v56, 0x3f737871, v6
	v_fmac_f32_e32 v6, 0xbf737871, v56
	v_fmamk_f32 v49, v58, 0xbf737871, v7
	v_fmac_f32_e32 v7, 0x3f737871, v58
	v_fmac_f32_e32 v48, 0xbf167918, v57
	;; [unrolled: 1-line block ×9, first 2 shown]
	v_add_f32_e32 v50, v0, v36
	ds_write2_b64 v75, v[4:5], v[6:7] offset0:80 offset1:205
	v_sub_f32_e32 v6, v24, v26
	v_sub_f32_e32 v7, v47, v45
	v_add_nc_u32_e32 v4, 0x2800, v237
	v_sub_f32_e32 v5, v46, v44
	v_sub_f32_e32 v24, v34, v32
	;; [unrolled: 1-line block ×3, first 2 shown]
	v_add_f32_e32 v43, v6, v7
	v_add_f32_e32 v6, v32, v18
	v_add_f32_e32 v7, v33, v19
	ds_write2_b64 v4, v[41:42], v[48:49] offset0:95 offset1:220
	v_sub_f32_e32 v4, v40, v25
	v_sub_f32_e32 v25, v16, v18
	v_fma_f32 v6, -0.5, v6, v20
	v_fma_f32 v7, -0.5, v7, v21
	v_add_f32_e32 v45, v26, v27
	v_add_f32_e32 v42, v4, v5
	v_fmamk_f32 v4, v53, 0xbf737871, v2
	v_fmac_f32_e32 v2, 0x3f737871, v53
	v_fmamk_f32 v5, v55, 0x3f737871, v3
	v_fmac_f32_e32 v3, 0xbf737871, v55
	v_add_f32_e32 v44, v24, v25
	v_fmamk_f32 v24, v57, 0xbf737871, v6
	v_fmac_f32_e32 v6, 0x3f737871, v57
	v_fmamk_f32 v25, v59, 0x3f737871, v7
	v_fmac_f32_e32 v7, 0xbf737871, v59
	v_fmac_f32_e32 v2, 0x3f167918, v52
	;; [unrolled: 1-line block ×4, first 2 shown]
	v_add_nc_u32_e32 v26, 0x5000, v237
	v_fmac_f32_e32 v7, 0xbf167918, v58
	v_fmac_f32_e32 v2, 0x3e9e377a, v42
	;; [unrolled: 1-line block ×4, first 2 shown]
	v_add_f32_e32 v46, v22, v38
	v_fmac_f32_e32 v7, 0x3e9e377a, v45
	v_add_f32_e32 v48, v23, v39
	v_sub_f32_e32 v27, v10, v8
	v_add_f32_e32 v53, v1, v37
	v_sub_f32_e32 v57, v31, v13
	ds_write2_b64 v26, v[2:3], v[6:7] offset0:65 offset1:190
	v_add_f32_e32 v2, v30, v12
	v_add_f32_e32 v3, v38, v14
	v_sub_f32_e32 v6, v12, v14
	v_sub_f32_e32 v7, v13, v15
	;; [unrolled: 1-line block ×3, first 2 shown]
	v_fma_f32 v2, -0.5, v2, v22
	v_fma_f32 v22, -0.5, v3, v22
	v_sub_f32_e32 v3, v30, v38
	v_sub_f32_e32 v59, v39, v15
	v_add_f32_e32 v51, v26, v27
	v_add_f32_e32 v26, v37, v9
	v_sub_f32_e32 v27, v11, v9
	v_add_f32_e32 v47, v3, v6
	v_add_f32_e32 v3, v31, v13
	;; [unrolled: 1-line block ×3, first 2 shown]
	v_fmac_f32_e32 v4, 0xbf167918, v52
	v_fmac_f32_e32 v5, 0x3f167918, v54
	;; [unrolled: 1-line block ×3, first 2 shown]
	v_fma_f32 v3, -0.5, v3, v23
	v_fmac_f32_e32 v23, -0.5, v6
	v_sub_f32_e32 v6, v31, v39
	v_fmac_f32_e32 v25, 0x3f167918, v58
	v_fmac_f32_e32 v4, 0x3e9e377a, v42
	;; [unrolled: 1-line block ×4, first 2 shown]
	v_add_f32_e32 v49, v6, v7
	v_add_f32_e32 v6, v28, v10
	v_add_f32_e32 v7, v36, v8
	v_fmac_f32_e32 v25, 0x3e9e377a, v45
	v_fma_f32 v6, -0.5, v6, v0
	v_fma_f32 v0, -0.5, v7, v0
	v_add_f32_e32 v7, v29, v11
	ds_write2_b64 v254, v[4:5], v[24:25] offset0:110 offset1:235
	v_add_f32_e32 v4, v50, v28
	v_add_f32_e32 v5, v53, v29
	v_fmamk_f32 v40, v62, 0x3f737871, v0
	v_fma_f32 v7, -0.5, v7, v1
	v_fmac_f32_e32 v1, -0.5, v26
	v_sub_f32_e32 v26, v29, v37
	v_fmac_f32_e32 v0, 0xbf737871, v62
	v_fmac_f32_e32 v40, 0xbf167918, v63
	v_add_f32_e32 v4, v4, v10
	v_fmamk_f32 v41, v64, 0xbf737871, v1
	v_add_f32_e32 v55, v26, v27
	v_fmamk_f32 v26, v57, 0x3f737871, v22
	v_fmamk_f32 v27, v60, 0xbf737871, v23
	v_fmac_f32_e32 v40, 0x3e9e377a, v51
	v_fmac_f32_e32 v41, 0x3f167918, v65
	;; [unrolled: 1-line block ×14, first 2 shown]
	ds_write2_b64 v66, v[26:27], v[40:41] offset0:89 offset1:214
	v_sub_f32_e32 v26, v38, v30
	v_sub_f32_e32 v27, v14, v12
	v_fmac_f32_e32 v22, 0x3e9e377a, v47
	v_fmac_f32_e32 v23, 0x3e9e377a, v49
	;; [unrolled: 1-line block ×4, first 2 shown]
	v_add_f32_e32 v38, v26, v27
	v_sub_f32_e32 v26, v39, v31
	v_sub_f32_e32 v27, v15, v13
	v_add_nc_u32_e32 v66, 0x5800, v237
	ds_write2_b64 v74, v[22:23], v[0:1] offset0:74 offset1:199
	v_add_f32_e32 v0, v20, v34
	v_add_f32_e32 v1, v21, v35
	;; [unrolled: 1-line block ×3, first 2 shown]
	v_sub_f32_e32 v26, v36, v28
	v_sub_f32_e32 v27, v8, v10
	v_fmamk_f32 v36, v63, 0xbf737871, v6
	v_fmac_f32_e32 v6, 0x3f737871, v63
	v_add_f32_e32 v0, v0, v32
	v_add_f32_e32 v1, v1, v33
	;; [unrolled: 1-line block ×3, first 2 shown]
	v_sub_f32_e32 v26, v37, v29
	v_sub_f32_e32 v27, v9, v11
	v_fmamk_f32 v37, v65, 0x3f737871, v7
	v_fmac_f32_e32 v7, 0xbf737871, v65
	v_fmac_f32_e32 v6, 0x3f167918, v62
	v_add_f32_e32 v0, v0, v18
	v_add_f32_e32 v41, v26, v27
	v_fmamk_f32 v26, v59, 0xbf737871, v2
	v_fmac_f32_e32 v2, 0x3f737871, v59
	v_fmamk_f32 v27, v61, 0x3f737871, v3
	v_fmac_f32_e32 v3, 0xbf737871, v61
	v_fmac_f32_e32 v7, 0xbf167918, v64
	;; [unrolled: 1-line block ×4, first 2 shown]
	v_add_f32_e32 v1, v1, v19
	v_fmac_f32_e32 v3, 0xbf167918, v60
	v_fmac_f32_e32 v7, 0x3e9e377a, v41
	;; [unrolled: 1-line block ×8, first 2 shown]
	v_add_f32_e32 v5, v5, v11
	v_add_f32_e32 v0, v0, v16
	ds_write2_b64 v66, v[2:3], v[6:7] offset0:59 offset1:184
	v_add_f32_e32 v2, v46, v30
	v_add_f32_e32 v3, v48, v31
	;; [unrolled: 1-line block ×3, first 2 shown]
	v_fmac_f32_e32 v26, 0x3e9e377a, v38
	v_fmac_f32_e32 v27, 0x3e9e377a, v39
	v_add_f32_e32 v2, v2, v12
	v_add_f32_e32 v3, v3, v13
	v_fmac_f32_e32 v36, 0x3e9e377a, v40
	v_fmac_f32_e32 v37, 0x3e9e377a, v41
	v_add_f32_e32 v4, v4, v8
	v_add_f32_e32 v2, v2, v14
	;; [unrolled: 1-line block ×4, first 2 shown]
	ds_write2_b64 v241, v[0:1], v[2:3] offset0:122 offset1:247
	ds_write2_b64 v232, v[26:27], v[36:37] offset0:104 offset1:229
	ds_write_b64 v237, v[4:5] offset:4000
	s_waitcnt lgkmcnt(0)
	s_barrier
	buffer_gl0_inv
	ds_read2_b64 v[2:5], v237 offset1:125
	ds_read2_b64 v[6:9], v255 offset0:98 offset1:223
	s_clause 0x1
	buffer_load_dword v11, off, s[20:23], 0 offset:128
	buffer_load_dword v12, off, s[20:23], 0 offset:132
	s_waitcnt vmcnt(0) lgkmcnt(1)
	v_mul_f32_e32 v19, v12, v3
	v_mul_f32_e32 v0, v12, v2
	s_clause 0x1
	buffer_load_dword v12, off, s[20:23], 0 offset:144
	buffer_load_dword v13, off, s[20:23], 0 offset:148
	v_fmac_f32_e32 v19, v11, v2
	v_fma_f32 v20, v11, v3, -v0
	s_waitcnt vmcnt(0)
	v_mul_f32_e32 v1, v13, v5
	v_mul_f32_e32 v10, v13, v4
	v_fmac_f32_e32 v1, v12, v4
	v_fma_f32 v0, v12, v5, -v10
	ds_read2_b64 v[10:13], v240 offset0:68 offset1:193
	s_clause 0x1
	buffer_load_dword v3, off, s[20:23], 0 offset:156
	buffer_load_dword v4, off, s[20:23], 0 offset:160
	s_waitcnt lgkmcnt(0)
	v_mul_f32_e32 v35, v247, v13
	v_fmac_f32_e32 v35, v246, v12
	s_waitcnt vmcnt(0)
	v_mul_f32_e32 v23, v4, v7
	v_mul_f32_e32 v2, v4, v6
	v_fmac_f32_e32 v23, v3, v6
	v_fma_f32 v25, v3, v7, -v2
	s_clause 0x1
	buffer_load_dword v3, off, s[20:23], 0 offset:136
	buffer_load_dword v4, off, s[20:23], 0 offset:140
	v_cvt_f64_f32_e32 v[23:24], v23
	s_waitcnt vmcnt(0)
	v_mul_f32_e32 v2, v4, v9
	v_mul_f32_e32 v7, v4, v8
	v_mov_b32_e32 v14, v3
	ds_read2_b64 v[3:6], v254 offset0:110 offset1:235
	v_fmac_f32_e32 v2, v14, v8
	v_fma_f32 v31, v14, v9, -v7
	s_clause 0x1
	buffer_load_dword v8, off, s[20:23], 0 offset:120
	buffer_load_dword v9, off, s[20:23], 0 offset:124
	s_waitcnt lgkmcnt(0)
	v_mul_f32_e32 v34, v251, v4
	v_mul_f32_e32 v15, v251, v3
	v_fmac_f32_e32 v34, v250, v3
	v_fma_f32 v38, v250, v4, -v15
	s_waitcnt vmcnt(0)
	v_mul_f32_e32 v7, v9, v10
	v_mul_f32_e32 v32, v9, v11
	v_fma_f32 v33, v8, v11, -v7
	v_mul_f32_e32 v11, v247, v12
	v_fmac_f32_e32 v32, v8, v10
	ds_read2_b64 v[7:10], v75 offset0:80 offset1:205
	v_fma_f32 v36, v246, v13, -v11
	s_clause 0x1
	buffer_load_dword v11, off, s[20:23], 0 offset:112
	buffer_load_dword v12, off, s[20:23], 0 offset:116
	s_waitcnt lgkmcnt(0)
	v_mul_f32_e32 v40, v253, v8
	v_mul_f32_e32 v15, v253, v7
	v_fmac_f32_e32 v40, v252, v7
	v_fma_f32 v42, v252, v8, -v15
	s_waitcnt vmcnt(0)
	v_mul_f32_e32 v37, v12, v6
	v_mul_f32_e32 v16, v12, v5
	v_mov_b32_e32 v17, v11
	ds_read2_b64 v[11:14], v241 offset0:122 offset1:247
	v_fmac_f32_e32 v37, v17, v5
	v_fma_f32 v39, v17, v6, -v16
	ds_read2_b64 v[3:6], v238 offset0:92 offset1:217
	s_clause 0x1
	buffer_load_dword v16, off, s[20:23], 0 offset:104
	buffer_load_dword v17, off, s[20:23], 0 offset:108
	s_waitcnt lgkmcnt(0)
	v_mul_f32_e32 v49, v249, v6
	v_fmac_f32_e32 v49, v248, v5
	s_waitcnt vmcnt(0)
	v_mul_f32_e32 v41, v17, v10
	v_mul_f32_e32 v21, v17, v9
	v_mov_b32_e32 v7, v16
	v_fmac_f32_e32 v41, v16, v9
	ds_read2_b64 v[15:18], v234 offset0:116 offset1:241
	v_fma_f32 v43, v7, v10, -v21
	s_clause 0x3
	buffer_load_dword v21, off, s[20:23], 0 offset:164
	buffer_load_dword v22, off, s[20:23], 0 offset:168
	;; [unrolled: 1-line block ×4, first 2 shown]
	s_waitcnt vmcnt(2)
	v_mul_f32_e32 v44, v22, v12
	v_mul_f32_e32 v7, v22, v11
	s_waitcnt vmcnt(0)
	v_mul_f32_e32 v45, v10, v14
	v_mul_f32_e32 v8, v10, v13
	v_fmac_f32_e32 v44, v21, v11
	s_clause 0x1
	buffer_load_dword v10, off, s[20:23], 0 offset:236
	buffer_load_dword v11, off, s[20:23], 0 offset:240
	v_fmac_f32_e32 v45, v9, v13
	v_fma_f32 v48, v9, v14, -v8
	s_clause 0x3
	buffer_load_dword v13, off, s[20:23], 0
	buffer_load_dword v14, off, s[20:23], 0 offset:4
	buffer_load_dword v26, off, s[20:23], 0 offset:80
	;; [unrolled: 1-line block ×3, first 2 shown]
	v_fma_f32 v47, v21, v12, -v7
	s_waitcnt vmcnt(4)
	v_mul_f32_e32 v7, v11, v3
	v_mul_f32_e32 v46, v11, v4
	s_waitcnt vmcnt(3)
	v_mad_u64_u32 v[11:12], null, s2, v13, 0
	v_fma_f32 v50, v10, v4, -v7
	s_waitcnt vmcnt(0) lgkmcnt(0)
	v_mul_f32_e32 v21, v27, v18
	v_mul_f32_e32 v4, v27, v17
	buffer_load_dword v27, off, s[20:23], 0 offset:152 ; 4-byte Folded Reload
	v_fmac_f32_e32 v46, v10, v3
	ds_read2_b64 v[7:10], v239 offset0:86 offset1:211
	s_clause 0x1
	buffer_load_dword v28, off, s[20:23], 0 offset:88
	buffer_load_dword v29, off, s[20:23], 0 offset:92
	v_mul_f32_e32 v3, v249, v5
	v_fmac_f32_e32 v21, v26, v17
	v_fma_f32 v51, v248, v6, -v3
	v_mov_b32_e32 v3, v12
	v_fma_f32 v6, v26, v18, -v4
	v_cvt_f64_f32_e32 v[17:18], v21
	v_cvt_f64_f32_e32 v[25:26], v25
	v_mad_u64_u32 v[3:4], null, s3, v13, v[3:4]
	v_cvt_f64_f32_e32 v[4:5], v19
	s_mov_b32 s2, 0x88e368f1
	s_mov_b32 s3, 0x3f34f8b5
	v_cvt_f64_f32_e32 v[13:14], v20
	v_cvt_f64_f32_e32 v[19:20], v6
	v_mov_b32_e32 v12, v3
	v_lshlrev_b64 v[11:12], 3, v[11:12]
	v_add_co_u32 v52, vcc_lo, s4, v11
	v_add_co_ci_u32_e32 v53, vcc_lo, s5, v12, vcc_lo
	s_mul_i32 s4, s1, 0x1388
	v_mul_f64 v[4:5], v[4:5], s[2:3]
	s_mul_hi_u32 s5, s0, 0x1388
	s_add_i32 s4, s5, s4
	s_mul_i32 s5, s0, 0x1388
	s_waitcnt vmcnt(2)
	v_mad_u64_u32 v[21:22], null, s0, v27, 0
	s_mulk_i32 s0, 0xb5c8
	s_waitcnt vmcnt(0) lgkmcnt(0)
	v_mul_f32_e32 v3, v29, v9
	v_mul_f32_e32 v6, v29, v10
	v_fma_f32 v29, v28, v10, -v3
	v_mov_b32_e32 v3, v22
	v_fmac_f32_e32 v6, v28, v9
	v_mul_f64 v[9:10], v[13:14], s[2:3]
	v_mul_f64 v[13:14], v[17:18], s[2:3]
	;; [unrolled: 1-line block ×3, first 2 shown]
	v_mad_u64_u32 v[19:20], null, s1, v27, v[3:4]
	v_cvt_f64_f32_e32 v[27:28], v6
	v_cvt_f64_f32_e32 v[29:30], v29
	v_cvt_f32_f64_e32 v3, v[4:5]
	s_mulk_i32 s1, 0xb5c8
	s_add_i32 s1, s6, s1
	v_mov_b32_e32 v22, v19
	v_mul_f64 v[19:20], v[23:24], s[2:3]
	v_mul_f64 v[23:24], v[25:26], s[2:3]
	v_cvt_f64_f32_e32 v[25:26], v1
	v_cvt_f64_f32_e32 v[0:1], v0
	v_lshlrev_b64 v[11:12], 3, v[21:22]
	v_cvt_f64_f32_e32 v[21:22], v33
	v_cvt_f32_f64_e32 v4, v[9:10]
	v_cvt_f32_f64_e32 v5, v[13:14]
	;; [unrolled: 1-line block ×3, first 2 shown]
	v_cvt_f64_f32_e32 v[17:18], v32
	v_cvt_f64_f32_e32 v[31:32], v31
	v_mul_f64 v[9:10], v[27:28], s[2:3]
	v_mul_f64 v[13:14], v[29:30], s[2:3]
	v_cvt_f64_f32_e32 v[27:28], v38
	v_cvt_f64_f32_e32 v[29:30], v2
	v_add_co_u32 v11, vcc_lo, v52, v11
	v_add_co_ci_u32_e32 v12, vcc_lo, v53, v12, vcc_lo
	v_cvt_f32_f64_e32 v19, v[19:20]
	v_cvt_f32_f64_e32 v20, v[23:24]
	v_cvt_f64_f32_e32 v[23:24], v34
	v_add_co_u32 v33, vcc_lo, v11, s5
	v_add_co_ci_u32_e32 v34, vcc_lo, s4, v12, vcc_lo
	global_store_dwordx2 v[11:12], v[3:4], off
	global_store_dwordx2 v[33:34], v[5:6], off
	v_mul_f64 v[2:3], v[25:26], s[2:3]
	v_mul_f64 v[0:1], v[0:1], s[2:3]
	v_add_co_u32 v4, vcc_lo, v33, s5
	v_cvt_f32_f64_e32 v9, v[9:10]
	v_cvt_f32_f64_e32 v10, v[13:14]
	v_mul_f64 v[13:14], v[17:18], s[2:3]
	v_mul_f64 v[17:18], v[21:22], s[2:3]
	;; [unrolled: 1-line block ×3, first 2 shown]
	v_add_co_ci_u32_e32 v5, vcc_lo, s4, v34, vcc_lo
	v_add_co_u32 v11, vcc_lo, v4, s5
	v_mul_f64 v[21:22], v[23:24], s[2:3]
	v_mul_f64 v[23:24], v[27:28], s[2:3]
	v_mul_f64 v[27:28], v[31:32], s[2:3]
	v_add_co_ci_u32_e32 v12, vcc_lo, s4, v5, vcc_lo
	global_store_dwordx2 v[4:5], v[19:20], off
	v_cvt_f64_f32_e32 v[4:5], v40
	v_cvt_f64_f32_e32 v[19:20], v42
	;; [unrolled: 1-line block ×5, first 2 shown]
	global_store_dwordx2 v[11:12], v[9:10], off
	v_cvt_f32_f64_e32 v9, v[13:14]
	v_cvt_f32_f64_e32 v10, v[17:18]
	;; [unrolled: 1-line block ×4, first 2 shown]
	v_add_co_u32 v11, vcc_lo, v11, s5
	v_add_co_ci_u32_e32 v12, vcc_lo, s4, v12, vcc_lo
	v_cvt_f32_f64_e32 v21, v[21:22]
	v_cvt_f32_f64_e32 v22, v[23:24]
	;; [unrolled: 1-line block ×4, first 2 shown]
	v_add_co_u32 v31, vcc_lo, v11, s0
	v_add_co_ci_u32_e32 v32, vcc_lo, s1, v12, vcc_lo
	v_mul_f64 v[4:5], v[4:5], s[2:3]
	v_mul_f64 v[19:20], v[19:20], s[2:3]
	v_cvt_f64_f32_e32 v[27:28], v44
	v_cvt_f64_f32_e32 v[13:14], v35
	v_add_co_u32 v35, vcc_lo, v31, s5
	v_cvt_f64_f32_e32 v[25:26], v36
	v_add_co_ci_u32_e32 v36, vcc_lo, s4, v32, vcc_lo
	v_add_co_u32 v39, vcc_lo, v35, s5
	ds_read2_b64 v[0:3], v233 offset0:62 offset1:187
	v_add_co_ci_u32_e32 v40, vcc_lo, s4, v36, vcc_lo
	global_store_dwordx2 v[11:12], v[9:10], off
	global_store_dwordx2 v[31:32], v[17:18], off
	;; [unrolled: 1-line block ×4, first 2 shown]
	s_clause 0x1
	buffer_load_dword v31, off, s[20:23], 0 offset:72
	buffer_load_dword v32, off, s[20:23], 0 offset:76
	v_add_co_u32 v21, vcc_lo, v39, s5
	v_add_co_ci_u32_e32 v22, vcc_lo, s4, v40, vcc_lo
	ds_read2_b64 v[9:12], v232 offset0:104 offset1:229
	v_cvt_f32_f64_e32 v4, v[4:5]
	v_cvt_f32_f64_e32 v5, v[19:20]
	v_mul_f64 v[17:18], v[27:28], s[2:3]
	v_mul_f64 v[19:20], v[29:30], s[2:3]
	v_mul_f64 v[13:14], v[13:14], s[2:3]
	v_mul_f64 v[23:24], v[33:34], s[2:3]
	v_mul_f64 v[25:26], v[25:26], s[2:3]
	v_mul_f64 v[27:28], v[37:38], s[2:3]
	v_cvt_f64_f32_e32 v[29:30], v46
	v_add_co_u32 v37, vcc_lo, v21, s5
	v_add_co_ci_u32_e32 v38, vcc_lo, s4, v22, vcc_lo
	v_cvt_f32_f64_e32 v39, v[17:18]
	v_cvt_f32_f64_e32 v40, v[19:20]
	s_clause 0x1
	buffer_load_dword v18, off, s[20:23], 0 offset:64
	buffer_load_dword v19, off, s[20:23], 0 offset:68
	v_cvt_f32_f64_e32 v13, v[13:14]
	v_cvt_f32_f64_e32 v23, v[23:24]
	;; [unrolled: 1-line block ×3, first 2 shown]
	v_mul_f64 v[27:28], v[29:30], s[2:3]
	s_waitcnt vmcnt(2) lgkmcnt(1)
	v_mul_f32_e32 v6, v32, v1
	v_mul_f32_e32 v14, v32, v0
	v_fmac_f32_e32 v6, v31, v0
	v_mov_b32_e32 v0, v31
	v_cvt_f64_f32_e32 v[31:32], v50
	v_cvt_f64_f32_e32 v[33:34], v6
	v_fma_f32 v35, v0, v1, -v14
	v_cvt_f32_f64_e32 v14, v[25:26]
	v_cvt_f64_f32_e32 v[0:1], v41
	v_cvt_f64_f32_e32 v[25:26], v43
	v_add_co_u32 v41, vcc_lo, v37, s0
	v_cvt_f64_f32_e32 v[35:36], v35
	v_add_co_ci_u32_e32 v42, vcc_lo, s1, v38, vcc_lo
	v_add_co_u32 v47, vcc_lo, v41, s5
	v_mul_f64 v[29:30], v[31:32], s[2:3]
	s_waitcnt vmcnt(0) lgkmcnt(0)
	v_mul_f32_e32 v6, v19, v10
	v_mul_f32_e32 v17, v19, v9
	v_mul_f64 v[0:1], v[0:1], s[2:3]
	v_fmac_f32_e32 v6, v18, v9
	v_fma_f32 v46, v18, v10, -v17
	v_mul_f64 v[9:10], v[25:26], s[2:3]
	v_mul_f64 v[25:26], v[33:34], s[2:3]
	;; [unrolled: 1-line block ×3, first 2 shown]
	v_cvt_f64_f32_e32 v[33:34], v45
	v_cvt_f64_f32_e32 v[35:36], v48
	v_add_co_ci_u32_e32 v48, vcc_lo, s4, v42, vcc_lo
	ds_read2_b64 v[17:20], v74 offset0:74 offset1:199
	global_store_dwordx2 v[21:22], v[4:5], off
	global_store_dwordx2 v[37:38], v[13:14], off
	;; [unrolled: 1-line block ×4, first 2 shown]
	v_cvt_f64_f32_e32 v[43:44], v6
	v_cvt_f32_f64_e32 v4, v[27:28]
	v_add_co_u32 v13, vcc_lo, v47, s5
	v_cvt_f32_f64_e32 v5, v[29:30]
	v_add_co_ci_u32_e32 v14, vcc_lo, s4, v48, vcc_lo
	v_add_co_u32 v29, vcc_lo, v13, s5
	v_cvt_f32_f64_e32 v0, v[0:1]
	v_add_co_ci_u32_e32 v30, vcc_lo, s4, v14, vcc_lo
	v_cvt_f64_f32_e32 v[45:46], v46
	v_cvt_f32_f64_e32 v1, v[9:10]
	v_cvt_f32_f64_e32 v9, v[25:26]
	v_cvt_f32_f64_e32 v10, v[31:32]
	v_mul_f64 v[21:22], v[33:34], s[2:3]
	s_clause 0x1
	buffer_load_dword v32, off, s[20:23], 0 offset:56
	buffer_load_dword v33, off, s[20:23], 0 offset:60
	v_mul_f64 v[23:24], v[35:36], s[2:3]
	v_mul_f64 v[25:26], v[43:44], s[2:3]
	global_store_dwordx2 v[13:14], v[4:5], off
	v_mul_f64 v[27:28], v[45:46], s[2:3]
	s_waitcnt vmcnt(0) lgkmcnt(0)
	v_mul_f32_e32 v31, v33, v17
	v_mul_f32_e32 v6, v33, v18
	v_cvt_f64_f32_e32 v[33:34], v51
	v_fma_f32 v35, v32, v18, -v31
	v_add_co_u32 v31, vcc_lo, v29, s5
	v_fmac_f32_e32 v6, v32, v17
	v_add_co_ci_u32_e32 v32, vcc_lo, s4, v30, vcc_lo
	global_store_dwordx2 v[29:30], v[0:1], off
	global_store_dwordx2 v[31:32], v[9:10], off
	v_cvt_f32_f64_e32 v0, v[21:22]
	v_cvt_f32_f64_e32 v21, v[25:26]
	s_clause 0x1
	buffer_load_dword v25, off, s[20:23], 0 offset:48
	buffer_load_dword v26, off, s[20:23], 0 offset:52
	v_cvt_f64_f32_e32 v[4:5], v6
	v_cvt_f32_f64_e32 v22, v[27:28]
	v_cvt_f64_f32_e32 v[13:14], v35
	v_add_co_u32 v9, vcc_lo, v31, s0
	v_add_co_ci_u32_e32 v10, vcc_lo, s1, v32, vcc_lo
	v_cvt_f64_f32_e32 v[17:18], v49
	v_cvt_f32_f64_e32 v1, v[23:24]
	v_add_co_u32 v23, vcc_lo, v9, s5
	v_add_co_ci_u32_e32 v24, vcc_lo, s4, v10, vcc_lo
	v_mul_f64 v[17:18], v[17:18], s[2:3]
	s_waitcnt vmcnt(0)
	v_mul_f32_e32 v6, v26, v3
	v_mul_f32_e32 v27, v26, v2
	v_fmac_f32_e32 v6, v25, v2
	v_mov_b32_e32 v2, v25
	v_mul_f64 v[25:26], v[33:34], s[2:3]
	v_fma_f32 v29, v2, v3, -v27
	ds_read_b64 v[27:28], v237 offset:24000
	s_clause 0x3
	buffer_load_dword v36, off, s[20:23], 0 offset:40
	buffer_load_dword v37, off, s[20:23], 0 offset:44
	;; [unrolled: 1-line block ×4, first 2 shown]
	v_mul_f64 v[2:3], v[4:5], s[2:3]
	v_mul_f64 v[4:5], v[13:14], s[2:3]
	v_cvt_f64_f32_e32 v[13:14], v6
	v_cvt_f64_f32_e32 v[29:30], v29
	v_cvt_f32_f64_e32 v2, v[2:3]
	v_cvt_f32_f64_e32 v3, v[4:5]
	s_waitcnt vmcnt(2)
	v_mul_f32_e32 v6, v37, v16
	v_mul_f32_e32 v31, v37, v15
	s_clause 0x1
	buffer_load_dword v37, off, s[20:23], 0 offset:16
	buffer_load_dword v38, off, s[20:23], 0 offset:20
	s_waitcnt vmcnt(2)
	v_mul_f32_e32 v32, v35, v12
	v_mul_f32_e32 v33, v35, v11
	v_fmac_f32_e32 v6, v36, v15
	v_fma_f32 v15, v36, v16, -v31
	v_fmac_f32_e32 v32, v34, v11
	v_fma_f32 v33, v34, v12, -v33
	v_cvt_f64_f32_e32 v[11:12], v6
	v_cvt_f64_f32_e32 v[15:16], v15
	;; [unrolled: 1-line block ×4, first 2 shown]
	v_mul_f64 v[15:16], v[15:16], s[2:3]
	v_mul_f64 v[4:5], v[31:32], s[2:3]
	v_cvt_f32_f64_e32 v4, v[4:5]
	s_waitcnt vmcnt(0)
	v_mul_f32_e32 v35, v38, v8
	v_mul_f32_e32 v6, v38, v7
	s_clause 0x3
	buffer_load_dword v38, off, s[20:23], 0 offset:24
	buffer_load_dword v39, off, s[20:23], 0 offset:28
	;; [unrolled: 1-line block ×4, first 2 shown]
	v_mov_b32_e32 v40, v37
	v_fmac_f32_e32 v35, v37, v7
	global_store_dwordx2 v[9:10], v[0:1], off
	global_store_dwordx2 v[23:24], v[21:22], off
	v_cvt_f32_f64_e32 v0, v[17:18]
	v_add_co_u32 v17, vcc_lo, v23, s5
	v_fma_f32 v6, v40, v8, -v6
	v_cvt_f64_f32_e32 v[35:36], v35
	v_mul_f64 v[10:11], v[11:12], s[2:3]
	v_mul_f64 v[21:22], v[33:34], s[2:3]
	v_add_co_ci_u32_e32 v18, vcc_lo, s4, v24, vcc_lo
	v_cvt_f32_f64_e32 v1, v[25:26]
	v_add_co_u32 v31, vcc_lo, v17, s5
	v_add_co_ci_u32_e32 v32, vcc_lo, s4, v18, vcc_lo
	v_add_co_u32 v12, vcc_lo, v31, s5
	v_mul_f64 v[23:24], v[35:36], s[2:3]
	v_cvt_f32_f64_e32 v10, v[10:11]
	v_cvt_f32_f64_e32 v11, v[15:16]
	;; [unrolled: 1-line block ×3, first 2 shown]
	global_store_dwordx2 v[17:18], v[0:1], off
	global_store_dwordx2 v[31:32], v[2:3], off
	v_cvt_f32_f64_e32 v21, v[23:24]
	s_waitcnt vmcnt(2)
	v_mul_f32_e32 v37, v39, v20
	v_mul_f32_e32 v7, v39, v19
	v_mov_b32_e32 v41, v38
	s_waitcnt vmcnt(0) lgkmcnt(0)
	v_mul_f32_e32 v38, v43, v28
	v_mul_f32_e32 v39, v43, v27
	v_fmac_f32_e32 v37, v41, v19
	v_fma_f32 v8, v41, v20, -v7
	v_fmac_f32_e32 v38, v42, v27
	v_fma_f32 v39, v42, v28, -v39
	v_cvt_f64_f32_e32 v[6:7], v6
	v_cvt_f64_f32_e32 v[19:20], v37
	;; [unrolled: 1-line block ×5, first 2 shown]
	v_mul_f64 v[8:9], v[13:14], s[2:3]
	v_mul_f64 v[13:14], v[29:30], s[2:3]
	;; [unrolled: 1-line block ×7, first 2 shown]
	v_cvt_f32_f64_e32 v8, v[8:9]
	v_cvt_f32_f64_e32 v9, v[13:14]
	v_add_co_ci_u32_e32 v13, vcc_lo, s4, v32, vcc_lo
	v_add_co_u32 v14, vcc_lo, v12, s0
	v_add_co_ci_u32_e32 v15, vcc_lo, s1, v13, vcc_lo
	v_add_co_u32 v23, vcc_lo, v14, s5
	v_add_co_ci_u32_e32 v24, vcc_lo, s4, v15, vcc_lo
	v_add_co_u32 v0, vcc_lo, v23, s5
	v_cvt_f32_f64_e32 v22, v[6:7]
	v_cvt_f32_f64_e32 v6, v[19:20]
	;; [unrolled: 1-line block ×5, first 2 shown]
	v_add_co_ci_u32_e32 v1, vcc_lo, s4, v24, vcc_lo
	v_add_co_u32 v2, vcc_lo, v0, s5
	global_store_dwordx2 v[12:13], v[8:9], off
	v_add_co_ci_u32_e32 v3, vcc_lo, s4, v1, vcc_lo
	v_add_co_u32 v8, vcc_lo, v2, s5
	v_add_co_ci_u32_e32 v9, vcc_lo, s4, v3, vcc_lo
	global_store_dwordx2 v[14:15], v[10:11], off
	global_store_dwordx2 v[23:24], v[4:5], off
	;; [unrolled: 1-line block ×5, first 2 shown]
.LBB0_2:
	s_endpgm
	.section	.rodata,"a",@progbits
	.p2align	6, 0x0
	.amdhsa_kernel bluestein_single_back_len3125_dim1_sp_op_CI_CI
		.amdhsa_group_segment_fixed_size 25000
		.amdhsa_private_segment_fixed_size 280
		.amdhsa_kernarg_size 104
		.amdhsa_user_sgpr_count 6
		.amdhsa_user_sgpr_private_segment_buffer 1
		.amdhsa_user_sgpr_dispatch_ptr 0
		.amdhsa_user_sgpr_queue_ptr 0
		.amdhsa_user_sgpr_kernarg_segment_ptr 1
		.amdhsa_user_sgpr_dispatch_id 0
		.amdhsa_user_sgpr_flat_scratch_init 0
		.amdhsa_user_sgpr_private_segment_size 0
		.amdhsa_wavefront_size32 1
		.amdhsa_uses_dynamic_stack 0
		.amdhsa_system_sgpr_private_segment_wavefront_offset 1
		.amdhsa_system_sgpr_workgroup_id_x 1
		.amdhsa_system_sgpr_workgroup_id_y 0
		.amdhsa_system_sgpr_workgroup_id_z 0
		.amdhsa_system_sgpr_workgroup_info 0
		.amdhsa_system_vgpr_workitem_id 0
		.amdhsa_next_free_vgpr 256
		.amdhsa_next_free_sgpr 24
		.amdhsa_reserve_vcc 1
		.amdhsa_reserve_flat_scratch 0
		.amdhsa_float_round_mode_32 0
		.amdhsa_float_round_mode_16_64 0
		.amdhsa_float_denorm_mode_32 3
		.amdhsa_float_denorm_mode_16_64 3
		.amdhsa_dx10_clamp 1
		.amdhsa_ieee_mode 1
		.amdhsa_fp16_overflow 0
		.amdhsa_workgroup_processor_mode 1
		.amdhsa_memory_ordered 1
		.amdhsa_forward_progress 0
		.amdhsa_shared_vgpr_count 0
		.amdhsa_exception_fp_ieee_invalid_op 0
		.amdhsa_exception_fp_denorm_src 0
		.amdhsa_exception_fp_ieee_div_zero 0
		.amdhsa_exception_fp_ieee_overflow 0
		.amdhsa_exception_fp_ieee_underflow 0
		.amdhsa_exception_fp_ieee_inexact 0
		.amdhsa_exception_int_div_zero 0
	.end_amdhsa_kernel
	.text
.Lfunc_end0:
	.size	bluestein_single_back_len3125_dim1_sp_op_CI_CI, .Lfunc_end0-bluestein_single_back_len3125_dim1_sp_op_CI_CI
                                        ; -- End function
	.section	.AMDGPU.csdata,"",@progbits
; Kernel info:
; codeLenInByte = 31672
; NumSgprs: 26
; NumVgprs: 256
; ScratchSize: 280
; MemoryBound: 0
; FloatMode: 240
; IeeeMode: 1
; LDSByteSize: 25000 bytes/workgroup (compile time only)
; SGPRBlocks: 3
; VGPRBlocks: 31
; NumSGPRsForWavesPerEU: 26
; NumVGPRsForWavesPerEU: 256
; Occupancy: 4
; WaveLimiterHint : 1
; COMPUTE_PGM_RSRC2:SCRATCH_EN: 1
; COMPUTE_PGM_RSRC2:USER_SGPR: 6
; COMPUTE_PGM_RSRC2:TRAP_HANDLER: 0
; COMPUTE_PGM_RSRC2:TGID_X_EN: 1
; COMPUTE_PGM_RSRC2:TGID_Y_EN: 0
; COMPUTE_PGM_RSRC2:TGID_Z_EN: 0
; COMPUTE_PGM_RSRC2:TIDIG_COMP_CNT: 0
	.text
	.p2alignl 6, 3214868480
	.fill 48, 4, 3214868480
	.type	__hip_cuid_fe53788c2785c3ed,@object ; @__hip_cuid_fe53788c2785c3ed
	.section	.bss,"aw",@nobits
	.globl	__hip_cuid_fe53788c2785c3ed
__hip_cuid_fe53788c2785c3ed:
	.byte	0                               ; 0x0
	.size	__hip_cuid_fe53788c2785c3ed, 1

	.ident	"AMD clang version 19.0.0git (https://github.com/RadeonOpenCompute/llvm-project roc-6.4.0 25133 c7fe45cf4b819c5991fe208aaa96edf142730f1d)"
	.section	".note.GNU-stack","",@progbits
	.addrsig
	.addrsig_sym __hip_cuid_fe53788c2785c3ed
	.amdgpu_metadata
---
amdhsa.kernels:
  - .args:
      - .actual_access:  read_only
        .address_space:  global
        .offset:         0
        .size:           8
        .value_kind:     global_buffer
      - .actual_access:  read_only
        .address_space:  global
        .offset:         8
        .size:           8
        .value_kind:     global_buffer
      - .actual_access:  read_only
        .address_space:  global
        .offset:         16
        .size:           8
        .value_kind:     global_buffer
      - .actual_access:  read_only
        .address_space:  global
        .offset:         24
        .size:           8
        .value_kind:     global_buffer
      - .actual_access:  read_only
        .address_space:  global
        .offset:         32
        .size:           8
        .value_kind:     global_buffer
      - .offset:         40
        .size:           8
        .value_kind:     by_value
      - .address_space:  global
        .offset:         48
        .size:           8
        .value_kind:     global_buffer
      - .address_space:  global
        .offset:         56
        .size:           8
        .value_kind:     global_buffer
      - .address_space:  global
        .offset:         64
        .size:           8
        .value_kind:     global_buffer
      - .address_space:  global
        .offset:         72
        .size:           8
        .value_kind:     global_buffer
      - .offset:         80
        .size:           4
        .value_kind:     by_value
      - .address_space:  global
        .offset:         88
        .size:           8
        .value_kind:     global_buffer
      - .address_space:  global
        .offset:         96
        .size:           8
        .value_kind:     global_buffer
    .group_segment_fixed_size: 25000
    .kernarg_segment_align: 8
    .kernarg_segment_size: 104
    .language:       OpenCL C
    .language_version:
      - 2
      - 0
    .max_flat_workgroup_size: 125
    .name:           bluestein_single_back_len3125_dim1_sp_op_CI_CI
    .private_segment_fixed_size: 280
    .sgpr_count:     26
    .sgpr_spill_count: 0
    .symbol:         bluestein_single_back_len3125_dim1_sp_op_CI_CI.kd
    .uniform_work_group_size: 1
    .uses_dynamic_stack: false
    .vgpr_count:     256
    .vgpr_spill_count: 69
    .wavefront_size: 32
    .workgroup_processor_mode: 1
amdhsa.target:   amdgcn-amd-amdhsa--gfx1030
amdhsa.version:
  - 1
  - 2
...

	.end_amdgpu_metadata
